;; amdgpu-corpus repo=ROCm/rocFFT kind=compiled arch=gfx1100 opt=O3
	.text
	.amdgcn_target "amdgcn-amd-amdhsa--gfx1100"
	.amdhsa_code_object_version 6
	.protected	fft_rtc_back_len3200_factors_10_10_4_4_2_wgs_160_tpt_160_halfLds_sp_ip_CI_unitstride_sbrr_dirReg ; -- Begin function fft_rtc_back_len3200_factors_10_10_4_4_2_wgs_160_tpt_160_halfLds_sp_ip_CI_unitstride_sbrr_dirReg
	.globl	fft_rtc_back_len3200_factors_10_10_4_4_2_wgs_160_tpt_160_halfLds_sp_ip_CI_unitstride_sbrr_dirReg
	.p2align	8
	.type	fft_rtc_back_len3200_factors_10_10_4_4_2_wgs_160_tpt_160_halfLds_sp_ip_CI_unitstride_sbrr_dirReg,@function
fft_rtc_back_len3200_factors_10_10_4_4_2_wgs_160_tpt_160_halfLds_sp_ip_CI_unitstride_sbrr_dirReg: ; @fft_rtc_back_len3200_factors_10_10_4_4_2_wgs_160_tpt_160_halfLds_sp_ip_CI_unitstride_sbrr_dirReg
; %bb.0:
	s_clause 0x2
	s_load_b128 s[4:7], s[0:1], 0x0
	s_load_b64 s[8:9], s[0:1], 0x50
	s_load_b64 s[10:11], s[0:1], 0x18
	v_mul_u32_u24_e32 v1, 0x19a, v0
	v_mov_b32_e32 v3, 0
	v_mov_b32_e32 v4, 0
	s_delay_alu instid0(VALU_DEP_3) | instskip(SKIP_1) | instid1(VALU_DEP_1)
	v_lshrrev_b32_e32 v2, 16, v1
	v_mov_b32_e32 v1, 0
	v_dual_mov_b32 v6, v1 :: v_dual_add_nc_u32 v5, s15, v2
	s_waitcnt lgkmcnt(0)
	v_cmp_lt_u64_e64 s2, s[6:7], 2
	s_delay_alu instid0(VALU_DEP_1)
	s_and_b32 vcc_lo, exec_lo, s2
	s_cbranch_vccnz .LBB0_8
; %bb.1:
	s_load_b64 s[2:3], s[0:1], 0x10
	v_mov_b32_e32 v3, 0
	s_add_u32 s12, s10, 8
	v_mov_b32_e32 v4, 0
	s_addc_u32 s13, s11, 0
	s_mov_b64 s[16:17], 1
	s_waitcnt lgkmcnt(0)
	s_add_u32 s14, s2, 8
	s_addc_u32 s15, s3, 0
.LBB0_2:                                ; =>This Inner Loop Header: Depth=1
	s_load_b64 s[18:19], s[14:15], 0x0
                                        ; implicit-def: $vgpr7_vgpr8
	s_mov_b32 s2, exec_lo
	s_waitcnt lgkmcnt(0)
	v_or_b32_e32 v2, s19, v6
	s_delay_alu instid0(VALU_DEP_1)
	v_cmpx_ne_u64_e32 0, v[1:2]
	s_xor_b32 s3, exec_lo, s2
	s_cbranch_execz .LBB0_4
; %bb.3:                                ;   in Loop: Header=BB0_2 Depth=1
	v_cvt_f32_u32_e32 v2, s18
	v_cvt_f32_u32_e32 v7, s19
	s_sub_u32 s2, 0, s18
	s_subb_u32 s20, 0, s19
	s_delay_alu instid0(VALU_DEP_1) | instskip(NEXT) | instid1(VALU_DEP_1)
	v_fmac_f32_e32 v2, 0x4f800000, v7
	v_rcp_f32_e32 v2, v2
	s_waitcnt_depctr 0xfff
	v_mul_f32_e32 v2, 0x5f7ffffc, v2
	s_delay_alu instid0(VALU_DEP_1) | instskip(NEXT) | instid1(VALU_DEP_1)
	v_mul_f32_e32 v7, 0x2f800000, v2
	v_trunc_f32_e32 v7, v7
	s_delay_alu instid0(VALU_DEP_1) | instskip(SKIP_1) | instid1(VALU_DEP_2)
	v_fmac_f32_e32 v2, 0xcf800000, v7
	v_cvt_u32_f32_e32 v7, v7
	v_cvt_u32_f32_e32 v2, v2
	s_delay_alu instid0(VALU_DEP_2) | instskip(NEXT) | instid1(VALU_DEP_2)
	v_mul_lo_u32 v8, s2, v7
	v_mul_hi_u32 v9, s2, v2
	v_mul_lo_u32 v10, s20, v2
	s_delay_alu instid0(VALU_DEP_2) | instskip(SKIP_1) | instid1(VALU_DEP_2)
	v_add_nc_u32_e32 v8, v9, v8
	v_mul_lo_u32 v9, s2, v2
	v_add_nc_u32_e32 v8, v8, v10
	s_delay_alu instid0(VALU_DEP_2) | instskip(NEXT) | instid1(VALU_DEP_2)
	v_mul_hi_u32 v10, v2, v9
	v_mul_lo_u32 v11, v2, v8
	v_mul_hi_u32 v12, v2, v8
	v_mul_hi_u32 v13, v7, v9
	v_mul_lo_u32 v9, v7, v9
	v_mul_hi_u32 v14, v7, v8
	v_mul_lo_u32 v8, v7, v8
	v_add_co_u32 v10, vcc_lo, v10, v11
	v_add_co_ci_u32_e32 v11, vcc_lo, 0, v12, vcc_lo
	s_delay_alu instid0(VALU_DEP_2) | instskip(NEXT) | instid1(VALU_DEP_2)
	v_add_co_u32 v9, vcc_lo, v10, v9
	v_add_co_ci_u32_e32 v9, vcc_lo, v11, v13, vcc_lo
	v_add_co_ci_u32_e32 v10, vcc_lo, 0, v14, vcc_lo
	s_delay_alu instid0(VALU_DEP_2) | instskip(NEXT) | instid1(VALU_DEP_2)
	v_add_co_u32 v8, vcc_lo, v9, v8
	v_add_co_ci_u32_e32 v9, vcc_lo, 0, v10, vcc_lo
	s_delay_alu instid0(VALU_DEP_2) | instskip(NEXT) | instid1(VALU_DEP_2)
	v_add_co_u32 v2, vcc_lo, v2, v8
	v_add_co_ci_u32_e32 v7, vcc_lo, v7, v9, vcc_lo
	s_delay_alu instid0(VALU_DEP_2) | instskip(SKIP_1) | instid1(VALU_DEP_3)
	v_mul_hi_u32 v8, s2, v2
	v_mul_lo_u32 v10, s20, v2
	v_mul_lo_u32 v9, s2, v7
	s_delay_alu instid0(VALU_DEP_1) | instskip(SKIP_1) | instid1(VALU_DEP_2)
	v_add_nc_u32_e32 v8, v8, v9
	v_mul_lo_u32 v9, s2, v2
	v_add_nc_u32_e32 v8, v8, v10
	s_delay_alu instid0(VALU_DEP_2) | instskip(NEXT) | instid1(VALU_DEP_2)
	v_mul_hi_u32 v10, v2, v9
	v_mul_lo_u32 v11, v2, v8
	v_mul_hi_u32 v12, v2, v8
	v_mul_hi_u32 v13, v7, v9
	v_mul_lo_u32 v9, v7, v9
	v_mul_hi_u32 v14, v7, v8
	v_mul_lo_u32 v8, v7, v8
	v_add_co_u32 v10, vcc_lo, v10, v11
	v_add_co_ci_u32_e32 v11, vcc_lo, 0, v12, vcc_lo
	s_delay_alu instid0(VALU_DEP_2) | instskip(NEXT) | instid1(VALU_DEP_2)
	v_add_co_u32 v9, vcc_lo, v10, v9
	v_add_co_ci_u32_e32 v9, vcc_lo, v11, v13, vcc_lo
	v_add_co_ci_u32_e32 v10, vcc_lo, 0, v14, vcc_lo
	s_delay_alu instid0(VALU_DEP_2) | instskip(NEXT) | instid1(VALU_DEP_2)
	v_add_co_u32 v8, vcc_lo, v9, v8
	v_add_co_ci_u32_e32 v9, vcc_lo, 0, v10, vcc_lo
	s_delay_alu instid0(VALU_DEP_2) | instskip(NEXT) | instid1(VALU_DEP_2)
	v_add_co_u32 v2, vcc_lo, v2, v8
	v_add_co_ci_u32_e32 v13, vcc_lo, v7, v9, vcc_lo
	s_delay_alu instid0(VALU_DEP_2) | instskip(SKIP_1) | instid1(VALU_DEP_3)
	v_mul_hi_u32 v14, v5, v2
	v_mad_u64_u32 v[9:10], null, v6, v2, 0
	v_mad_u64_u32 v[7:8], null, v5, v13, 0
	;; [unrolled: 1-line block ×3, first 2 shown]
	s_delay_alu instid0(VALU_DEP_2) | instskip(NEXT) | instid1(VALU_DEP_3)
	v_add_co_u32 v2, vcc_lo, v14, v7
	v_add_co_ci_u32_e32 v7, vcc_lo, 0, v8, vcc_lo
	s_delay_alu instid0(VALU_DEP_2) | instskip(NEXT) | instid1(VALU_DEP_2)
	v_add_co_u32 v2, vcc_lo, v2, v9
	v_add_co_ci_u32_e32 v2, vcc_lo, v7, v10, vcc_lo
	v_add_co_ci_u32_e32 v7, vcc_lo, 0, v12, vcc_lo
	s_delay_alu instid0(VALU_DEP_2) | instskip(NEXT) | instid1(VALU_DEP_2)
	v_add_co_u32 v2, vcc_lo, v2, v11
	v_add_co_ci_u32_e32 v9, vcc_lo, 0, v7, vcc_lo
	s_delay_alu instid0(VALU_DEP_2) | instskip(SKIP_1) | instid1(VALU_DEP_3)
	v_mul_lo_u32 v10, s19, v2
	v_mad_u64_u32 v[7:8], null, s18, v2, 0
	v_mul_lo_u32 v11, s18, v9
	s_delay_alu instid0(VALU_DEP_2) | instskip(NEXT) | instid1(VALU_DEP_2)
	v_sub_co_u32 v7, vcc_lo, v5, v7
	v_add3_u32 v8, v8, v11, v10
	s_delay_alu instid0(VALU_DEP_1) | instskip(NEXT) | instid1(VALU_DEP_1)
	v_sub_nc_u32_e32 v10, v6, v8
	v_subrev_co_ci_u32_e64 v10, s2, s19, v10, vcc_lo
	v_add_co_u32 v11, s2, v2, 2
	s_delay_alu instid0(VALU_DEP_1) | instskip(SKIP_3) | instid1(VALU_DEP_3)
	v_add_co_ci_u32_e64 v12, s2, 0, v9, s2
	v_sub_co_u32 v13, s2, v7, s18
	v_sub_co_ci_u32_e32 v8, vcc_lo, v6, v8, vcc_lo
	v_subrev_co_ci_u32_e64 v10, s2, 0, v10, s2
	v_cmp_le_u32_e32 vcc_lo, s18, v13
	s_delay_alu instid0(VALU_DEP_3) | instskip(SKIP_1) | instid1(VALU_DEP_4)
	v_cmp_eq_u32_e64 s2, s19, v8
	v_cndmask_b32_e64 v13, 0, -1, vcc_lo
	v_cmp_le_u32_e32 vcc_lo, s19, v10
	v_cndmask_b32_e64 v14, 0, -1, vcc_lo
	v_cmp_le_u32_e32 vcc_lo, s18, v7
	;; [unrolled: 2-line block ×3, first 2 shown]
	v_cndmask_b32_e64 v15, 0, -1, vcc_lo
	v_cmp_eq_u32_e32 vcc_lo, s19, v10
	s_delay_alu instid0(VALU_DEP_2) | instskip(SKIP_3) | instid1(VALU_DEP_3)
	v_cndmask_b32_e64 v7, v15, v7, s2
	v_cndmask_b32_e32 v10, v14, v13, vcc_lo
	v_add_co_u32 v13, vcc_lo, v2, 1
	v_add_co_ci_u32_e32 v14, vcc_lo, 0, v9, vcc_lo
	v_cmp_ne_u32_e32 vcc_lo, 0, v10
	s_delay_alu instid0(VALU_DEP_2) | instskip(NEXT) | instid1(VALU_DEP_4)
	v_cndmask_b32_e32 v8, v14, v12, vcc_lo
	v_cndmask_b32_e32 v10, v13, v11, vcc_lo
	v_cmp_ne_u32_e32 vcc_lo, 0, v7
	s_delay_alu instid0(VALU_DEP_2)
	v_dual_cndmask_b32 v7, v2, v10 :: v_dual_cndmask_b32 v8, v9, v8
.LBB0_4:                                ;   in Loop: Header=BB0_2 Depth=1
	s_and_not1_saveexec_b32 s2, s3
	s_cbranch_execz .LBB0_6
; %bb.5:                                ;   in Loop: Header=BB0_2 Depth=1
	v_cvt_f32_u32_e32 v2, s18
	s_sub_i32 s3, 0, s18
	s_delay_alu instid0(VALU_DEP_1) | instskip(SKIP_2) | instid1(VALU_DEP_1)
	v_rcp_iflag_f32_e32 v2, v2
	s_waitcnt_depctr 0xfff
	v_mul_f32_e32 v2, 0x4f7ffffe, v2
	v_cvt_u32_f32_e32 v2, v2
	s_delay_alu instid0(VALU_DEP_1) | instskip(NEXT) | instid1(VALU_DEP_1)
	v_mul_lo_u32 v7, s3, v2
	v_mul_hi_u32 v7, v2, v7
	s_delay_alu instid0(VALU_DEP_1) | instskip(NEXT) | instid1(VALU_DEP_1)
	v_add_nc_u32_e32 v2, v2, v7
	v_mul_hi_u32 v2, v5, v2
	s_delay_alu instid0(VALU_DEP_1) | instskip(SKIP_1) | instid1(VALU_DEP_2)
	v_mul_lo_u32 v7, v2, s18
	v_add_nc_u32_e32 v8, 1, v2
	v_sub_nc_u32_e32 v7, v5, v7
	s_delay_alu instid0(VALU_DEP_1) | instskip(SKIP_1) | instid1(VALU_DEP_2)
	v_subrev_nc_u32_e32 v9, s18, v7
	v_cmp_le_u32_e32 vcc_lo, s18, v7
	v_dual_cndmask_b32 v7, v7, v9 :: v_dual_cndmask_b32 v2, v2, v8
	s_delay_alu instid0(VALU_DEP_1) | instskip(NEXT) | instid1(VALU_DEP_2)
	v_cmp_le_u32_e32 vcc_lo, s18, v7
	v_add_nc_u32_e32 v8, 1, v2
	s_delay_alu instid0(VALU_DEP_1)
	v_dual_cndmask_b32 v7, v2, v8 :: v_dual_mov_b32 v8, v1
.LBB0_6:                                ;   in Loop: Header=BB0_2 Depth=1
	s_or_b32 exec_lo, exec_lo, s2
	s_load_b64 s[2:3], s[12:13], 0x0
	s_delay_alu instid0(VALU_DEP_1) | instskip(NEXT) | instid1(VALU_DEP_2)
	v_mul_lo_u32 v2, v8, s18
	v_mul_lo_u32 v11, v7, s19
	v_mad_u64_u32 v[9:10], null, v7, s18, 0
	s_add_u32 s16, s16, 1
	s_addc_u32 s17, s17, 0
	s_add_u32 s12, s12, 8
	s_addc_u32 s13, s13, 0
	;; [unrolled: 2-line block ×3, first 2 shown]
	s_delay_alu instid0(VALU_DEP_1) | instskip(SKIP_1) | instid1(VALU_DEP_2)
	v_add3_u32 v2, v10, v11, v2
	v_sub_co_u32 v9, vcc_lo, v5, v9
	v_sub_co_ci_u32_e32 v2, vcc_lo, v6, v2, vcc_lo
	s_waitcnt lgkmcnt(0)
	s_delay_alu instid0(VALU_DEP_2) | instskip(NEXT) | instid1(VALU_DEP_2)
	v_mul_lo_u32 v10, s3, v9
	v_mul_lo_u32 v2, s2, v2
	v_mad_u64_u32 v[5:6], null, s2, v9, v[3:4]
	v_cmp_ge_u64_e64 s2, s[16:17], s[6:7]
	s_delay_alu instid0(VALU_DEP_1) | instskip(NEXT) | instid1(VALU_DEP_2)
	s_and_b32 vcc_lo, exec_lo, s2
	v_add3_u32 v4, v10, v6, v2
	s_delay_alu instid0(VALU_DEP_3)
	v_mov_b32_e32 v3, v5
	s_cbranch_vccnz .LBB0_9
; %bb.7:                                ;   in Loop: Header=BB0_2 Depth=1
	v_dual_mov_b32 v5, v7 :: v_dual_mov_b32 v6, v8
	s_branch .LBB0_2
.LBB0_8:
	v_dual_mov_b32 v8, v6 :: v_dual_mov_b32 v7, v5
.LBB0_9:
	s_lshl_b64 s[2:3], s[6:7], 3
	v_mul_hi_u32 v1, 0x199999a, v0
	s_add_u32 s2, s10, s2
	s_addc_u32 s3, s11, s3
	s_load_b64 s[2:3], s[2:3], 0x0
	s_load_b64 s[0:1], s[0:1], 0x20
	s_delay_alu instid0(VALU_DEP_1)
	v_mul_u32_u24_e32 v5, 0xa0, v1
	s_waitcnt lgkmcnt(0)
	v_mul_lo_u32 v6, s2, v8
	v_mul_lo_u32 v9, s3, v7
	v_mad_u64_u32 v[1:2], null, s2, v7, v[3:4]
	v_sub_nc_u32_e32 v4, v0, v5
	v_cmp_gt_u64_e32 vcc_lo, s[0:1], v[7:8]
	v_cmp_le_u64_e64 s0, s[0:1], v[7:8]
                                        ; implicit-def: $vgpr5
	s_delay_alu instid0(VALU_DEP_3) | instskip(SKIP_1) | instid1(VALU_DEP_3)
	v_or_b32_e32 v0, 0x500, v4
	v_add3_u32 v2, v9, v2, v6
	s_and_saveexec_b32 s1, s0
	s_delay_alu instid0(SALU_CYCLE_1)
	s_xor_b32 s0, exec_lo, s1
; %bb.10:
	v_or_b32_e32 v5, 0x500, v4
; %bb.11:
	s_or_saveexec_b32 s1, s0
	v_lshlrev_b64 v[2:3], 3, v[1:2]
                                        ; implicit-def: $vgpr19
                                        ; implicit-def: $vgpr29
                                        ; implicit-def: $vgpr39
                                        ; implicit-def: $vgpr41
                                        ; implicit-def: $vgpr31
                                        ; implicit-def: $vgpr43
                                        ; implicit-def: $vgpr45
                                        ; implicit-def: $vgpr33
                                        ; implicit-def: $vgpr7
                                        ; implicit-def: $vgpr21
                                        ; implicit-def: $vgpr17
                                        ; implicit-def: $vgpr23
                                        ; implicit-def: $vgpr25
                                        ; implicit-def: $vgpr13
                                        ; implicit-def: $vgpr27
                                        ; implicit-def: $vgpr11
                                        ; implicit-def: $vgpr15
                                        ; implicit-def: $vgpr9
                                        ; implicit-def: $vgpr35
                                        ; implicit-def: $vgpr37
	s_xor_b32 exec_lo, exec_lo, s1
	s_cbranch_execz .LBB0_13
; %bb.12:
	v_mov_b32_e32 v5, 0
	s_delay_alu instid0(VALU_DEP_2) | instskip(NEXT) | instid1(VALU_DEP_1)
	v_add_co_u32 v20, s0, s8, v2
	v_add_co_ci_u32_e64 v21, s0, s9, v3, s0
	s_delay_alu instid0(VALU_DEP_3) | instskip(SKIP_4) | instid1(VALU_DEP_4)
	v_lshlrev_b64 v[6:7], 3, v[4:5]
	v_mov_b32_e32 v1, v5
	v_or_b32_e32 v14, 0xa00, v4
	v_mov_b32_e32 v15, v5
	v_mov_b32_e32 v5, v0
	v_lshlrev_b64 v[8:9], 3, v[0:1]
	v_add_co_u32 v6, s0, v20, v6
	s_delay_alu instid0(VALU_DEP_1) | instskip(NEXT) | instid1(VALU_DEP_2)
	v_add_co_ci_u32_e64 v7, s0, v21, v7, s0
	v_add_co_u32 v10, s0, 0x1000, v6
	s_delay_alu instid0(VALU_DEP_1) | instskip(SKIP_1) | instid1(VALU_DEP_1)
	v_add_co_ci_u32_e64 v11, s0, 0, v7, s0
	v_add_co_u32 v8, s0, v20, v8
	v_add_co_ci_u32_e64 v9, s0, v21, v9, s0
	v_add_co_u32 v12, s0, 0x3000, v6
	s_delay_alu instid0(VALU_DEP_1) | instskip(SKIP_1) | instid1(VALU_DEP_1)
	v_add_co_ci_u32_e64 v13, s0, 0, v7, s0
	v_add_co_u32 v16, s0, 0x4000, v6
	v_add_co_ci_u32_e64 v17, s0, 0, v7, s0
	s_clause 0x4
	global_load_b64 v[18:19], v[6:7], off
	global_load_b64 v[38:39], v[10:11], off offset:1024
	global_load_b64 v[40:41], v[8:9], off
	global_load_b64 v[30:31], v[12:13], off offset:512
	global_load_b64 v[34:35], v[16:17], off offset:1536
	v_lshlrev_b64 v[8:9], 3, v[14:15]
	v_add_co_u32 v46, s0, 0x5000, v6
	s_delay_alu instid0(VALU_DEP_1) | instskip(NEXT) | instid1(VALU_DEP_3)
	v_add_co_ci_u32_e64 v47, s0, 0, v7, s0
	v_add_co_u32 v44, s0, v20, v8
	s_delay_alu instid0(VALU_DEP_1) | instskip(SKIP_1) | instid1(VALU_DEP_1)
	v_add_co_ci_u32_e64 v45, s0, v21, v9, s0
	v_add_co_u32 v48, s0, 0x2000, v6
	v_add_co_ci_u32_e64 v49, s0, 0, v7, s0
	s_clause 0xe
	global_load_b64 v[32:33], v[46:47], off offset:2560
	global_load_b64 v[8:9], v[6:7], off offset:3840
	;; [unrolled: 1-line block ×11, first 2 shown]
	global_load_b64 v[44:45], v[44:45], off
	global_load_b64 v[12:13], v[16:17], off offset:2816
	global_load_b64 v[16:17], v[48:49], off offset:768
	global_load_b64 v[10:11], v[46:47], off offset:3840
.LBB0_13:
	s_or_b32 exec_lo, exec_lo, s1
	s_waitcnt vmcnt(6)
	v_dual_add_f32 v1, v40, v42 :: v_dual_sub_f32 v48, v41, v43
	s_waitcnt vmcnt(3)
	v_dual_add_f32 v46, v18, v38 :: v_dual_sub_f32 v47, v39, v45
	v_dual_sub_f32 v49, v38, v40 :: v_dual_sub_f32 v50, v44, v42
	s_delay_alu instid0(VALU_DEP_3) | instskip(SKIP_1) | instid1(VALU_DEP_3)
	v_fma_f32 v1, -0.5, v1, v18
	v_dual_add_f32 v51, v38, v44 :: v_dual_sub_f32 v52, v40, v38
	v_dual_add_f32 v46, v46, v40 :: v_dual_add_f32 v49, v49, v50
	s_delay_alu instid0(VALU_DEP_2) | instskip(NEXT) | instid1(VALU_DEP_2)
	v_dual_fmamk_f32 v53, v47, 0xbf737871, v1 :: v_dual_fmac_f32 v18, -0.5, v51
	v_dual_fmac_f32 v1, 0x3f737871, v47 :: v_dual_add_f32 v46, v46, v42
	v_sub_f32_e32 v50, v42, v44
	s_delay_alu instid0(VALU_DEP_3) | instskip(NEXT) | instid1(VALU_DEP_4)
	v_dual_fmac_f32 v53, 0xbf167918, v48 :: v_dual_add_f32 v54, v19, v39
	v_fmamk_f32 v51, v48, 0x3f737871, v18
	v_dual_add_f32 v55, v41, v43 :: v_dual_fmac_f32 v18, 0xbf737871, v48
	s_delay_alu instid0(VALU_DEP_4) | instskip(NEXT) | instid1(VALU_DEP_3)
	v_dual_fmac_f32 v1, 0x3f167918, v48 :: v_dual_add_f32 v50, v52, v50
	v_dual_fmac_f32 v51, 0xbf167918, v47 :: v_dual_add_f32 v48, v54, v41
	s_delay_alu instid0(VALU_DEP_3) | instskip(NEXT) | instid1(VALU_DEP_3)
	v_fma_f32 v52, -0.5, v55, v19
	v_dual_sub_f32 v38, v38, v44 :: v_dual_fmac_f32 v1, 0x3e9e377a, v49
	v_dual_add_f32 v46, v46, v44 :: v_dual_fmac_f32 v53, 0x3e9e377a, v49
	s_delay_alu instid0(VALU_DEP_4) | instskip(SKIP_3) | instid1(VALU_DEP_3)
	v_dual_fmac_f32 v51, 0x3e9e377a, v50 :: v_dual_add_f32 v44, v48, v43
	v_dual_add_f32 v48, v39, v45 :: v_dual_sub_f32 v49, v45, v43
	v_fmac_f32_e32 v18, 0x3f167918, v47
	v_dual_fmamk_f32 v47, v38, 0x3f737871, v52 :: v_dual_sub_f32 v40, v40, v42
	v_dual_sub_f32 v42, v39, v41 :: v_dual_fmac_f32 v19, -0.5, v48
	s_delay_alu instid0(VALU_DEP_3) | instskip(NEXT) | instid1(VALU_DEP_2)
	v_dual_fmac_f32 v18, 0x3e9e377a, v50 :: v_dual_sub_f32 v39, v41, v39
	v_dual_fmac_f32 v47, 0x3f167918, v40 :: v_dual_add_f32 v42, v42, v49
	v_dual_fmac_f32 v52, 0xbf737871, v38 :: v_dual_sub_f32 v41, v43, v45
	v_add_f32_e32 v43, v28, v36
	v_fmamk_f32 v48, v40, 0xbf737871, v19
	v_fmac_f32_e32 v19, 0x3f737871, v40
	s_delay_alu instid0(VALU_DEP_4) | instskip(SKIP_4) | instid1(VALU_DEP_3)
	v_dual_fmac_f32 v52, 0xbf167918, v40 :: v_dual_add_f32 v39, v39, v41
	v_add_f32_e32 v41, v30, v34
	v_add_f32_e32 v40, v30, v43
	v_dual_add_f32 v44, v44, v45 :: v_dual_fmac_f32 v47, 0x3e9e377a, v42
	v_fmac_f32_e32 v48, 0x3f167918, v38
	v_dual_fmac_f32 v19, 0xbf167918, v38 :: v_dual_add_f32 v38, v34, v40
	v_fmac_f32_e32 v52, 0x3e9e377a, v42
	v_fma_f32 v40, -0.5, v41, v28
	v_add_f32_e32 v41, v32, v36
	s_delay_alu instid0(VALU_DEP_4) | instskip(SKIP_1) | instid1(VALU_DEP_3)
	v_dual_fmac_f32 v19, 0x3e9e377a, v39 :: v_dual_sub_f32 v42, v37, v33
	v_dual_fmac_f32 v48, 0x3e9e377a, v39 :: v_dual_add_f32 v43, v32, v38
	v_dual_fmac_f32 v28, -0.5, v41 :: v_dual_sub_f32 v45, v32, v34
	v_dual_sub_f32 v41, v36, v30 :: v_dual_sub_f32 v38, v31, v35
	s_delay_alu instid0(VALU_DEP_4) | instskip(SKIP_1) | instid1(VALU_DEP_3)
	v_fmamk_f32 v39, v42, 0xbf737871, v40
	v_fmac_f32_e32 v40, 0x3f737871, v42
	v_dual_sub_f32 v50, v30, v36 :: v_dual_add_f32 v41, v45, v41
	s_delay_alu instid0(VALU_DEP_4) | instskip(NEXT) | instid1(VALU_DEP_4)
	v_fmamk_f32 v49, v38, 0x3f737871, v28
	v_fmac_f32_e32 v39, 0xbf167918, v38
	s_delay_alu instid0(VALU_DEP_4) | instskip(SKIP_4) | instid1(VALU_DEP_2)
	v_fmac_f32_e32 v40, 0x3f167918, v38
	v_fmac_f32_e32 v28, 0xbf737871, v38
	v_add_f32_e32 v38, v31, v35
	v_dual_sub_f32 v54, v34, v32 :: v_dual_fmac_f32 v49, 0xbf167918, v42
	v_dual_fmac_f32 v39, 0x3e9e377a, v41 :: v_dual_sub_f32 v32, v36, v32
	v_dual_fmac_f32 v40, 0x3e9e377a, v41 :: v_dual_add_f32 v45, v54, v50
	v_add_f32_e32 v41, v33, v37
	v_fma_f32 v38, -0.5, v38, v29
	v_sub_f32_e32 v30, v30, v34
	v_add_f32_e32 v36, v29, v37
	v_fmac_f32_e32 v49, 0x3e9e377a, v45
	v_dual_fmac_f32 v29, -0.5, v41 :: v_dual_fmac_f32 v28, 0x3f167918, v42
	v_dual_sub_f32 v41, v37, v31 :: v_dual_fmamk_f32 v34, v32, 0x3f737871, v38
	v_dual_sub_f32 v37, v31, v37 :: v_dual_sub_f32 v42, v33, v35
	s_delay_alu instid0(VALU_DEP_3) | instskip(NEXT) | instid1(VALU_DEP_4)
	v_fmac_f32_e32 v28, 0x3e9e377a, v45
	v_fmamk_f32 v45, v30, 0xbf737871, v29
	v_add_f32_e32 v31, v31, v36
	v_dual_sub_f32 v50, v35, v33 :: v_dual_fmac_f32 v29, 0x3f737871, v30
	v_fmac_f32_e32 v38, 0xbf737871, v32
	s_delay_alu instid0(VALU_DEP_4) | instskip(SKIP_1) | instid1(VALU_DEP_4)
	v_dual_fmac_f32 v45, 0x3f167918, v32 :: v_dual_fmac_f32 v34, 0x3f167918, v30
	v_add_f32_e32 v41, v42, v41
	v_add_f32_e32 v37, v50, v37
	s_delay_alu instid0(VALU_DEP_4) | instskip(SKIP_1) | instid1(VALU_DEP_4)
	v_dual_fmac_f32 v29, 0xbf167918, v32 :: v_dual_fmac_f32 v38, 0xbf167918, v30
	v_add_f32_e32 v30, v35, v31
	v_fmac_f32_e32 v34, 0x3e9e377a, v41
	s_delay_alu instid0(VALU_DEP_4) | instskip(NEXT) | instid1(VALU_DEP_4)
	v_fmac_f32_e32 v45, 0x3e9e377a, v37
	v_fmac_f32_e32 v29, 0x3e9e377a, v37
	s_delay_alu instid0(VALU_DEP_4) | instskip(SKIP_2) | instid1(VALU_DEP_4)
	v_dual_fmac_f32 v38, 0x3e9e377a, v41 :: v_dual_add_f32 v41, v33, v30
	v_add_f32_e32 v30, v46, v43
	v_mul_f32_e32 v56, 0x3f4f1bbd, v34
	v_dual_mul_f32 v54, 0xbf737871, v29 :: v_dual_sub_f32 v35, v46, v43
	v_mul_f32_e32 v57, 0xbe9e377a, v29
	v_add_f32_e32 v36, v44, v41
	s_delay_alu instid0(VALU_DEP_4) | instskip(NEXT) | instid1(VALU_DEP_4)
	v_fmac_f32_e32 v56, 0x3f167918, v39
	v_fmac_f32_e32 v54, 0xbe9e377a, v28
	v_mul_f32_e32 v42, 0xbf167918, v34
	v_fmac_f32_e32 v57, 0x3f737871, v28
	v_sub_f32_e32 v41, v44, v41
	v_add_f32_e32 v37, v47, v56
	s_delay_alu instid0(VALU_DEP_4) | instskip(NEXT) | instid1(VALU_DEP_4)
	v_dual_add_f32 v33, v18, v54 :: v_dual_fmac_f32 v42, 0x3f4f1bbd, v39
	v_add_f32_e32 v39, v19, v57
	v_mul_f32_e32 v50, 0xbf737871, v45
	v_mul_f32_e32 v55, 0xbf167918, v38
	;; [unrolled: 1-line block ×3, first 2 shown]
	v_add_f32_e32 v31, v53, v42
	v_cmp_gt_u32_e64 s0, 0x64, v4
	v_fmac_f32_e32 v50, 0x3e9e377a, v49
	v_mul_f32_e32 v49, 0x3f737871, v49
	v_fmac_f32_e32 v55, 0xbf4f1bbd, v40
	s_delay_alu instid0(VALU_DEP_2) | instskip(NEXT) | instid1(VALU_DEP_4)
	v_fmac_f32_e32 v49, 0x3e9e377a, v45
	v_dual_add_f32 v45, v22, v24 :: v_dual_add_f32 v32, v51, v50
	s_delay_alu instid0(VALU_DEP_3)
	v_dual_add_f32 v34, v1, v55 :: v_dual_sub_f32 v29, v51, v50
	v_sub_f32_e32 v43, v1, v55
	v_add_f32_e32 v1, v6, v20
	v_fmac_f32_e32 v58, 0x3f167918, v40
	v_fma_f32 v46, -0.5, v45, v6
	v_sub_f32_e32 v50, v21, v27
	s_delay_alu instid0(VALU_DEP_4) | instskip(NEXT) | instid1(VALU_DEP_4)
	v_dual_sub_f32 v44, v47, v56 :: v_dual_add_f32 v1, v1, v22
	v_add_f32_e32 v40, v52, v58
	v_add_f32_e32 v38, v48, v49
	v_dual_sub_f32 v28, v53, v42 :: v_dual_sub_f32 v45, v48, v49
	v_dual_sub_f32 v48, v23, v25 :: v_dual_sub_f32 v49, v20, v22
	v_fmamk_f32 v47, v50, 0xbf737871, v46
	v_sub_f32_e32 v51, v26, v24
	v_add_f32_e32 v53, v20, v26
	v_dual_sub_f32 v42, v18, v54 :: v_dual_add_f32 v1, v1, v24
	s_delay_alu instid0(VALU_DEP_3)
	v_dual_sub_f32 v18, v19, v57 :: v_dual_add_f32 v49, v49, v51
	v_fmac_f32_e32 v46, 0x3f737871, v50
	v_dual_sub_f32 v19, v52, v58 :: v_dual_sub_f32 v52, v22, v20
	v_dual_fmac_f32 v47, 0xbf167918, v48 :: v_dual_fmac_f32 v6, -0.5, v53
	v_dual_add_f32 v1, v1, v26 :: v_dual_add_f32 v54, v7, v21
	v_sub_f32_e32 v53, v24, v26
	v_dual_add_f32 v55, v23, v25 :: v_dual_sub_f32 v20, v20, v26
	s_delay_alu instid0(VALU_DEP_4) | instskip(SKIP_3) | instid1(VALU_DEP_4)
	v_dual_fmamk_f32 v51, v48, 0x3f737871, v6 :: v_dual_sub_f32 v22, v22, v24
	v_fmac_f32_e32 v47, 0x3e9e377a, v49
	v_fmac_f32_e32 v46, 0x3f167918, v48
	;; [unrolled: 1-line block ×3, first 2 shown]
	v_dual_add_f32 v48, v54, v23 :: v_dual_fmac_f32 v51, 0xbf167918, v50
	v_add_f32_e32 v52, v52, v53
	v_fma_f32 v53, -0.5, v55, v7
	v_fmac_f32_e32 v46, 0x3e9e377a, v49
	v_dual_fmac_f32 v6, 0x3f167918, v50 :: v_dual_add_f32 v49, v21, v27
	v_add_f32_e32 v26, v48, v25
	s_delay_alu instid0(VALU_DEP_4)
	v_fmamk_f32 v48, v20, 0x3f737871, v53
	v_sub_f32_e32 v24, v21, v23
	v_sub_f32_e32 v50, v27, v25
	v_dual_fmac_f32 v6, 0x3e9e377a, v52 :: v_dual_sub_f32 v21, v23, v21
	v_fmac_f32_e32 v7, -0.5, v49
	v_fmac_f32_e32 v53, 0xbf737871, v20
	v_dual_add_f32 v49, v26, v27 :: v_dual_fmac_f32 v48, 0x3f167918, v22
	v_sub_f32_e32 v23, v25, v27
	s_waitcnt vmcnt(1)
	v_add_f32_e32 v25, v16, v8
	v_add_f32_e32 v24, v24, v50
	v_fmamk_f32 v50, v22, 0xbf737871, v7
	v_fmac_f32_e32 v53, 0xbf167918, v22
	v_add_f32_e32 v21, v21, v23
	v_dual_fmac_f32 v7, 0x3f737871, v22 :: v_dual_add_f32 v22, v14, v25
	v_dual_add_f32 v23, v12, v14 :: v_dual_fmac_f32 v48, 0x3e9e377a, v24
	v_fmac_f32_e32 v50, 0x3f167918, v20
	s_waitcnt vmcnt(0)
	v_dual_fmac_f32 v53, 0x3e9e377a, v24 :: v_dual_sub_f32 v24, v17, v11
	v_dual_fmac_f32 v7, 0xbf167918, v20 :: v_dual_add_f32 v20, v12, v22
	v_fma_f32 v22, -0.5, v23, v8
	v_dual_add_f32 v23, v16, v10 :: v_dual_sub_f32 v26, v10, v12
	s_delay_alu instid0(VALU_DEP_3) | instskip(NEXT) | instid1(VALU_DEP_4)
	v_fmac_f32_e32 v7, 0x3e9e377a, v21
	v_dual_add_f32 v25, v10, v20 :: v_dual_sub_f32 v20, v15, v13
	s_delay_alu instid0(VALU_DEP_3)
	v_dual_fmac_f32 v8, -0.5, v23 :: v_dual_sub_f32 v23, v16, v14
	v_fmac_f32_e32 v50, 0x3e9e377a, v21
	v_fmamk_f32 v21, v24, 0xbf737871, v22
	v_fmac_f32_e32 v22, 0x3f737871, v24
	v_fmac_f32_e32 v51, 0x3e9e377a, v52
	v_add_f32_e32 v23, v26, v23
	v_dual_fmamk_f32 v27, v20, 0x3f737871, v8 :: v_dual_sub_f32 v52, v14, v16
	v_dual_sub_f32 v54, v12, v10 :: v_dual_fmac_f32 v21, 0xbf167918, v20
	v_fmac_f32_e32 v22, 0x3f167918, v20
	s_delay_alu instid0(VALU_DEP_3) | instskip(NEXT) | instid1(VALU_DEP_3)
	v_fmac_f32_e32 v27, 0xbf167918, v24
	v_dual_add_f32 v26, v54, v52 :: v_dual_fmac_f32 v21, 0x3e9e377a, v23
	s_delay_alu instid0(VALU_DEP_3)
	v_fmac_f32_e32 v22, 0x3e9e377a, v23
	v_dual_add_f32 v23, v17, v11 :: v_dual_fmac_f32 v8, 0xbf737871, v20
	v_add_f32_e32 v20, v13, v15
	v_sub_f32_e32 v52, v13, v11
	v_sub_f32_e32 v12, v14, v12
	;; [unrolled: 1-line block ×4, first 2 shown]
	v_fma_f32 v20, -0.5, v20, v9
	v_dual_add_f32 v16, v17, v9 :: v_dual_fmac_f32 v9, -0.5, v23
	v_dual_fmac_f32 v8, 0x3f167918, v24 :: v_dual_sub_f32 v17, v15, v17
	v_fmac_f32_e32 v27, 0x3e9e377a, v26
	v_mul_f32_e32 v56, 0x3f167918, v21
	s_delay_alu instid0(VALU_DEP_3) | instskip(SKIP_4) | instid1(VALU_DEP_4)
	v_dual_add_f32 v17, v52, v17 :: v_dual_fmac_f32 v8, 0x3e9e377a, v26
	v_fmamk_f32 v26, v12, 0xbf737871, v9
	v_fmac_f32_e32 v9, 0x3f737871, v12
	v_dual_fmamk_f32 v23, v10, 0x3f737871, v20 :: v_dual_sub_f32 v24, v11, v13
	v_fmac_f32_e32 v20, 0xbf737871, v10
	v_fmac_f32_e32 v26, 0x3f167918, v10
	s_delay_alu instid0(VALU_DEP_4) | instskip(NEXT) | instid1(VALU_DEP_4)
	v_fmac_f32_e32 v9, 0xbf167918, v10
	v_fmac_f32_e32 v23, 0x3f167918, v12
	v_mul_f32_e32 v57, 0x3f737871, v27
	s_delay_alu instid0(VALU_DEP_4) | instskip(NEXT) | instid1(VALU_DEP_4)
	v_fmac_f32_e32 v26, 0x3e9e377a, v17
	v_dual_add_f32 v10, v15, v16 :: v_dual_fmac_f32 v9, 0x3e9e377a, v17
	s_delay_alu instid0(VALU_DEP_2) | instskip(SKIP_1) | instid1(VALU_DEP_3)
	v_dual_sub_f32 v16, v1, v25 :: v_dual_mul_f32 v17, 0xbf737871, v26
	v_add_f32_e32 v14, v24, v14
	v_mul_f32_e32 v58, 0xbe9e377a, v9
	s_delay_alu instid0(VALU_DEP_3) | instskip(NEXT) | instid1(VALU_DEP_3)
	v_fmac_f32_e32 v17, 0x3e9e377a, v27
	v_fmac_f32_e32 v23, 0x3e9e377a, v14
	s_delay_alu instid0(VALU_DEP_3) | instskip(SKIP_1) | instid1(VALU_DEP_3)
	v_fmac_f32_e32 v58, 0x3f737871, v8
	v_fmac_f32_e32 v20, 0xbf167918, v12
	v_mul_f32_e32 v12, 0xbf167918, v23
	v_fmac_f32_e32 v56, 0x3f4f1bbd, v23
	s_delay_alu instid0(VALU_DEP_2) | instskip(NEXT) | instid1(VALU_DEP_4)
	v_dual_fmac_f32 v12, 0x3f4f1bbd, v21 :: v_dual_add_f32 v21, v7, v58
	v_fmac_f32_e32 v20, 0x3e9e377a, v14
	v_dual_add_f32 v10, v13, v10 :: v_dual_add_f32 v13, v51, v17
	s_delay_alu instid0(VALU_DEP_1) | instskip(SKIP_3) | instid1(VALU_DEP_4)
	v_dual_mul_f32 v55, 0xbf167918, v20 :: v_dual_add_f32 v54, v11, v10
	v_add_f32_e32 v10, v1, v25
	v_mul_u32_u24_e32 v1, 10, v4
	v_sub_f32_e32 v25, v51, v17
	v_fmac_f32_e32 v55, 0xbf4f1bbd, v22
	v_dual_mul_f32 v52, 0xbf737871, v9 :: v_dual_add_f32 v9, v48, v56
	v_fmac_f32_e32 v57, 0x3e9e377a, v26
	v_lshl_add_u32 v17, v1, 2, 0
	v_sub_f32_e32 v23, v49, v54
	v_add_f32_e32 v11, v47, v12
	v_sub_f32_e32 v27, v46, v55
	v_add_f32_e32 v15, v46, v55
	v_mad_i32_i24 v1, 0xffffffdc, v4, v17
	v_dual_sub_f32 v24, v47, v12 :: v_dual_sub_f32 v47, v50, v57
	v_mul_f32_e32 v59, 0xbf4f1bbd, v20
	v_add_nc_u32_e32 v12, 0xa0, v4
	v_add_nc_u32_e32 v51, 0x1910, v17
	ds_store_2addr_b64 v17, v[30:31], v[32:33] offset1:1
	ds_store_2addr_b64 v17, v[34:35], v[28:29] offset0:2 offset1:3
	v_add_nc_u32_e32 v29, 0x1b00, v1
	v_fmac_f32_e32 v59, 0x3f167918, v22
	v_fmac_f32_e32 v52, 0xbe9e377a, v8
	v_add_f32_e32 v8, v49, v54
	v_add_nc_u32_e32 v74, 0xa00, v1
	v_add_nc_u32_e32 v78, 0x1600, v1
	v_add_f32_e32 v22, v53, v59
	v_dual_add_f32 v20, v50, v57 :: v_dual_sub_f32 v49, v53, v59
	v_add_f32_e32 v14, v6, v52
	v_add_nc_u32_e32 v50, 0x1900, v17
	v_sub_f32_e32 v26, v6, v52
	ds_store_2addr_b64 v50, v[10:11], v[13:14] offset1:1
	ds_store_2addr_b64 v51, v[15:16], v[24:25] offset1:1
	ds_store_b64 v17, v[42:43] offset:32
	ds_store_b64 v17, v[26:27] offset:6432
	v_and_b32_e32 v10, 0xff, v4
	v_add_nc_u32_e32 v11, 0x400, v1
	v_lshl_add_u32 v31, v5, 2, 0
	s_waitcnt lgkmcnt(0)
	s_barrier
	v_mul_lo_u16 v13, 0xcd, v10
	v_add_nc_u32_e32 v10, 0xe00, v1
	buffer_gl0_inv
	ds_load_2addr_b32 v[54:55], v11 offset0:64 offset1:224
	v_add_nc_u32_e32 v30, 0x2000, v1
	v_lshrrev_b16 v13, 11, v13
	v_dual_sub_f32 v46, v48, v56 :: v_dual_add_nc_u32 v33, 0x2a00, v1
	v_sub_f32_e32 v48, v7, v58
	ds_load_2addr_b32 v[6:7], v1 offset1:160
	v_mul_lo_u16 v14, v13, 10
	ds_load_2addr_b32 v[56:57], v74 offset1:160
	ds_load_2addr_b32 v[58:59], v10 offset0:64 offset1:224
	v_add_nc_u32_e32 v32, 0x2500, v1
	ds_load_2addr_b32 v[60:61], v78 offset0:32 offset1:192
	ds_load_2addr_b32 v[62:63], v29 offset0:32 offset1:192
	;; [unrolled: 1-line block ×5, first 2 shown]
	v_sub_nc_u16 v14, v4, v14
	ds_load_b32 v86, v31
	ds_load_b32 v87, v1 offset:12160
	s_waitcnt lgkmcnt(0)
	s_barrier
	buffer_gl0_inv
	v_and_b32_e32 v14, 0xff, v14
	ds_store_2addr_b64 v17, v[36:37], v[38:39] offset1:1
	ds_store_2addr_b64 v17, v[40:41], v[44:45] offset0:2 offset1:3
	ds_store_2addr_b64 v50, v[8:9], v[20:21] offset1:1
	ds_store_2addr_b64 v51, v[22:23], v[46:47] offset1:1
	v_and_b32_e32 v9, 0xffff, v12
	ds_store_b64 v17, v[18:19] offset:32
	ds_store_b64 v17, v[48:49] offset:6432
	s_waitcnt lgkmcnt(0)
	v_mul_u32_u24_e32 v15, 9, v14
	s_barrier
	v_mul_u32_u24_e32 v9, 0xcccd, v9
	buffer_gl0_inv
	v_and_b32_e32 v13, 0xffff, v13
	v_lshlrev_b32_e32 v8, 3, v15
	v_lshrrev_b32_e32 v15, 19, v9
	s_delay_alu instid0(VALU_DEP_3)
	v_mul_u32_u24_e32 v13, 0x190, v13
	s_clause 0x1
	global_load_b128 v[17:20], v8, s[4:5]
	global_load_b128 v[21:24], v8, s[4:5] offset:16
	v_mul_lo_u16 v9, v15, 10
	s_clause 0x1
	global_load_b128 v[25:28], v8, s[4:5] offset:32
	global_load_b128 v[34:37], v8, s[4:5] offset:48
	v_sub_nc_u16 v9, v12, v9
	s_delay_alu instid0(VALU_DEP_1) | instskip(NEXT) | instid1(VALU_DEP_1)
	v_and_b32_e32 v16, 0xffff, v9
	v_mul_u32_u24_e32 v9, 9, v16
	s_delay_alu instid0(VALU_DEP_1)
	v_lshlrev_b32_e32 v70, 3, v9
	s_clause 0x5
	global_load_b64 v[8:9], v8, s[4:5] offset:64
	global_load_b128 v[38:41], v70, s[4:5]
	global_load_b128 v[42:45], v70, s[4:5] offset:16
	global_load_b128 v[46:49], v70, s[4:5] offset:32
	;; [unrolled: 1-line block ×3, first 2 shown]
	global_load_b64 v[70:71], v70, s[4:5] offset:64
	ds_load_2addr_b32 v[72:73], v11 offset0:64 offset1:224
	ds_load_2addr_b32 v[74:75], v74 offset1:160
	ds_load_b32 v11, v31
	ds_load_2addr_b32 v[76:77], v10 offset0:64 offset1:224
	ds_load_2addr_b32 v[78:79], v78 offset0:32 offset1:192
	ds_load_2addr_b32 v[80:81], v29 offset0:32 offset1:192
	ds_load_2addr_b32 v[82:83], v30 offset0:32 offset1:192
	ds_load_2addr_b32 v[84:85], v32 offset0:32 offset1:192
	ds_load_b32 v90, v1 offset:12160
	s_waitcnt vmcnt(9) lgkmcnt(8)
	v_mul_f32_e32 v88, v72, v18
	v_mul_f32_e32 v18, v54, v18
	s_waitcnt lgkmcnt(7)
	v_mul_f32_e32 v89, v74, v20
	v_mul_f32_e32 v20, v56, v20
	s_delay_alu instid0(VALU_DEP_2) | instskip(NEXT) | instid1(VALU_DEP_2)
	v_dual_fmac_f32 v88, v54, v17 :: v_dual_fmac_f32 v89, v56, v19
	v_fma_f32 v56, v74, v19, -v20
	s_waitcnt vmcnt(8) lgkmcnt(5)
	v_mul_f32_e32 v74, v76, v22
	s_delay_alu instid0(VALU_DEP_1)
	v_fmac_f32_e32 v74, v58, v21
	s_waitcnt vmcnt(4)
	v_mul_f32_e32 v19, v57, v41
	v_fma_f32 v54, v72, v17, -v18
	v_mul_f32_e32 v72, v11, v24
	v_mul_f32_e32 v17, v86, v24
	;; [unrolled: 1-line block ×3, first 2 shown]
	s_delay_alu instid0(VALU_DEP_3) | instskip(NEXT) | instid1(VALU_DEP_3)
	v_fmac_f32_e32 v72, v86, v23
	v_fma_f32 v86, v11, v23, -v17
	ds_load_2addr_b32 v[23:24], v33 offset0:32 offset1:192
	v_fma_f32 v58, v76, v21, -v18
	s_waitcnt lgkmcnt(5)
	v_mul_f32_e32 v76, v79, v26
	v_mul_f32_e32 v11, v61, v26
	s_waitcnt lgkmcnt(4)
	v_mul_f32_e32 v26, v81, v28
	v_mul_f32_e32 v17, v63, v28
	s_waitcnt lgkmcnt(3)
	v_mul_f32_e32 v28, v83, v35
	v_fmac_f32_e32 v76, v61, v25
	v_fma_f32 v25, v79, v25, -v11
	v_fmac_f32_e32 v26, v63, v27
	v_fma_f32 v27, v81, v27, -v17
	v_mul_f32_e32 v11, v65, v35
	s_waitcnt lgkmcnt(2)
	v_mul_f32_e32 v35, v85, v37
	s_waitcnt vmcnt(3)
	v_dual_mul_f32 v17, v67, v37 :: v_dual_mul_f32 v22, v77, v43
	s_delay_alu instid0(VALU_DEP_2) | instskip(NEXT) | instid1(VALU_DEP_2)
	v_fmac_f32_e32 v35, v67, v36
	v_fma_f32 v36, v85, v36, -v17
	v_mul_f32_e32 v17, v73, v39
	s_waitcnt lgkmcnt(0)
	v_mul_f32_e32 v37, v24, v9
	v_mul_f32_e32 v9, v69, v9
	;; [unrolled: 1-line block ×3, first 2 shown]
	v_fmac_f32_e32 v22, v59, v42
	v_fmac_f32_e32 v17, v55, v38
	;; [unrolled: 1-line block ×3, first 2 shown]
	v_fma_f32 v24, v24, v8, -v9
	v_mul_f32_e32 v8, v55, v39
	v_mul_f32_e32 v39, v75, v41
	s_waitcnt vmcnt(2)
	v_dual_mul_f32 v41, v80, v47 :: v_dual_lshlrev_b32 v14, 2, v14
	s_delay_alu instid0(VALU_DEP_3)
	v_fma_f32 v18, v73, v38, -v8
	v_fma_f32 v38, v75, v40, -v19
	v_mul_f32_e32 v19, v59, v43
	ds_load_2addr_b32 v[8:9], v1 offset1:160
	v_dual_fmac_f32 v39, v57, v40 :: v_dual_mul_f32 v40, v78, v45
	v_mul_f32_e32 v43, v82, v49
	v_fma_f32 v21, v77, v42, -v19
	v_mul_f32_e32 v19, v62, v47
	s_waitcnt vmcnt(1)
	v_mul_f32_e32 v47, v66, v51
	v_fma_f32 v42, v78, v44, -v20
	v_mul_f32_e32 v45, v84, v51
	v_sub_f32_e32 v51, v56, v36
	v_fma_f32 v20, v80, v46, -v19
	v_fma_f32 v19, v84, v50, -v47
	v_mul_f32_e32 v47, v23, v53
	v_fmac_f32_e32 v43, v64, v48
	v_fmac_f32_e32 v45, v66, v50
	s_waitcnt vmcnt(0)
	v_dual_add_f32 v50, v6, v89 :: v_dual_mul_f32 v59, v87, v71
	v_fmac_f32_e32 v47, v68, v52
	v_dual_sub_f32 v55, v35, v26 :: v_dual_fmac_f32 v40, v60, v44
	v_dual_mul_f32 v44, v64, v49 :: v_dual_fmac_f32 v41, v62, v46
	s_waitcnt lgkmcnt(0)
	v_add_f32_e32 v61, v8, v56
	v_mul_f32_e32 v49, v90, v71
	v_add_f32_e32 v57, v89, v35
	v_fma_f32 v44, v82, v48, -v44
	v_dual_mul_f32 v48, v68, v53 :: v_dual_sub_f32 v53, v89, v72
	v_fmac_f32_e32 v28, v65, v34
	v_fma_f32 v34, v83, v34, -v11
	v_sub_f32_e32 v60, v26, v35
	s_delay_alu instid0(VALU_DEP_4)
	v_fma_f32 v23, v23, v52, -v48
	v_dual_add_f32 v48, v50, v72 :: v_dual_add_f32 v53, v53, v55
	v_fma_f32 v55, v90, v70, -v59
	v_sub_f32_e32 v59, v72, v89
	v_add_f32_e32 v46, v72, v26
	v_add_f32_e32 v62, v86, v27
	v_dual_sub_f32 v52, v86, v27 :: v_dual_sub_f32 v63, v76, v74
	s_delay_alu instid0(VALU_DEP_4) | instskip(NEXT) | instid1(VALU_DEP_4)
	v_add_f32_e32 v59, v59, v60
	v_fma_f32 v46, -0.5, v46, v6
	s_delay_alu instid0(VALU_DEP_4)
	v_fma_f32 v60, -0.5, v62, v8
	v_sub_f32_e32 v64, v28, v37
	v_sub_f32_e32 v62, v36, v27
	v_fma_f32 v6, -0.5, v57, v6
	v_fmamk_f32 v50, v51, 0xbf737871, v46
	v_fmac_f32_e32 v46, 0x3f737871, v51
	v_add_nc_u32_e32 v11, 0x140, v4
	v_sub_f32_e32 v65, v34, v24
	s_delay_alu instid0(VALU_DEP_4) | instskip(NEXT) | instid1(VALU_DEP_4)
	v_dual_fmac_f32 v49, v87, v70 :: v_dual_fmac_f32 v50, 0xbf167918, v52
	v_fmac_f32_e32 v46, 0x3f167918, v52
	s_barrier
	buffer_gl0_inv
	v_fmac_f32_e32 v50, 0x3e9e377a, v53
	v_dual_fmac_f32 v46, 0x3e9e377a, v53 :: v_dual_add_f32 v53, v56, v36
	v_fmamk_f32 v57, v52, 0x3f737871, v6
	v_fmac_f32_e32 v6, 0xbf737871, v52
	s_delay_alu instid0(VALU_DEP_3) | instskip(NEXT) | instid1(VALU_DEP_3)
	v_fma_f32 v8, -0.5, v53, v8
	v_dual_fmac_f32 v57, 0xbf167918, v51 :: v_dual_add_f32 v48, v48, v26
	s_delay_alu instid0(VALU_DEP_3) | instskip(SKIP_1) | instid1(VALU_DEP_3)
	v_fmac_f32_e32 v6, 0x3f167918, v51
	v_sub_f32_e32 v26, v72, v26
	v_dual_add_f32 v52, v61, v86 :: v_dual_fmac_f32 v57, 0x3e9e377a, v59
	s_delay_alu instid0(VALU_DEP_3) | instskip(NEXT) | instid1(VALU_DEP_3)
	v_dual_sub_f32 v61, v56, v86 :: v_dual_fmac_f32 v6, 0x3e9e377a, v59
	v_fmamk_f32 v59, v26, 0xbf737871, v8
	s_delay_alu instid0(VALU_DEP_3) | instskip(SKIP_3) | instid1(VALU_DEP_4)
	v_add_f32_e32 v51, v52, v27
	v_add_f32_e32 v48, v48, v35
	v_sub_f32_e32 v35, v89, v35
	v_dual_sub_f32 v27, v27, v36 :: v_dual_fmac_f32 v8, 0x3f737871, v26
	v_dual_add_f32 v51, v51, v36 :: v_dual_add_f32 v36, v88, v74
	s_delay_alu instid0(VALU_DEP_3) | instskip(SKIP_3) | instid1(VALU_DEP_4)
	v_fmamk_f32 v52, v35, 0x3f737871, v60
	v_dual_fmac_f32 v60, 0xbf737871, v35 :: v_dual_add_f32 v53, v61, v62
	v_fmac_f32_e32 v59, 0x3f167918, v35
	v_fmac_f32_e32 v8, 0xbf167918, v35
	;; [unrolled: 1-line block ×3, first 2 shown]
	s_delay_alu instid0(VALU_DEP_4) | instskip(SKIP_2) | instid1(VALU_DEP_3)
	v_fmac_f32_e32 v60, 0xbf167918, v26
	v_add_f32_e32 v26, v36, v76
	v_add_f32_e32 v36, v76, v28
	v_dual_sub_f32 v61, v37, v28 :: v_dual_fmac_f32 v60, 0x3e9e377a, v53
	s_delay_alu instid0(VALU_DEP_3) | instskip(NEXT) | instid1(VALU_DEP_3)
	v_add_f32_e32 v26, v26, v28
	v_fma_f32 v35, -0.5, v36, v88
	v_sub_f32_e32 v28, v76, v28
	v_add_f32_e32 v36, v74, v37
	s_delay_alu instid0(VALU_DEP_4) | instskip(SKIP_2) | instid1(VALU_DEP_1)
	v_add_f32_e32 v26, v26, v37
	v_sub_f32_e32 v37, v74, v37
	v_sub_f32_e32 v56, v86, v56
	v_dual_fmac_f32 v88, -0.5, v36 :: v_dual_add_f32 v27, v56, v27
	s_delay_alu instid0(VALU_DEP_1) | instskip(NEXT) | instid1(VALU_DEP_1)
	v_dual_sub_f32 v56, v74, v76 :: v_dual_fmac_f32 v59, 0x3e9e377a, v27
	v_add_f32_e32 v56, v56, v61
	v_dual_fmac_f32 v52, 0x3e9e377a, v53 :: v_dual_sub_f32 v53, v58, v24
	v_dual_fmac_f32 v8, 0x3e9e377a, v27 :: v_dual_sub_f32 v27, v25, v34
	s_delay_alu instid0(VALU_DEP_2) | instskip(NEXT) | instid1(VALU_DEP_2)
	v_fmamk_f32 v36, v53, 0xbf737871, v35
	v_dual_fmac_f32 v35, 0x3f737871, v53 :: v_dual_fmamk_f32 v62, v27, 0x3f737871, v88
	v_fmac_f32_e32 v88, 0xbf737871, v27
	s_delay_alu instid0(VALU_DEP_3) | instskip(NEXT) | instid1(VALU_DEP_3)
	v_fmac_f32_e32 v36, 0xbf167918, v27
	v_fmac_f32_e32 v35, 0x3f167918, v27
	s_delay_alu instid0(VALU_DEP_4) | instskip(SKIP_1) | instid1(VALU_DEP_4)
	v_dual_add_f32 v27, v25, v34 :: v_dual_fmac_f32 v62, 0xbf167918, v53
	v_add_f32_e32 v61, v63, v64
	v_fmac_f32_e32 v36, 0x3e9e377a, v56
	v_dual_fmac_f32 v88, 0x3f167918, v53 :: v_dual_add_f32 v53, v58, v24
	s_delay_alu instid0(VALU_DEP_4) | instskip(NEXT) | instid1(VALU_DEP_4)
	v_fma_f32 v27, -0.5, v27, v54
	v_dual_fmac_f32 v35, 0x3e9e377a, v56 :: v_dual_fmac_f32 v62, 0x3e9e377a, v61
	v_add_f32_e32 v56, v54, v58
	s_delay_alu instid0(VALU_DEP_4)
	v_fmac_f32_e32 v54, -0.5, v53
	v_fmac_f32_e32 v88, 0x3e9e377a, v61
	v_fmamk_f32 v53, v37, 0x3f737871, v27
	v_sub_f32_e32 v61, v58, v25
	v_sub_f32_e32 v63, v24, v34
	v_dual_fmac_f32 v27, 0xbf737871, v37 :: v_dual_fmamk_f32 v64, v28, 0xbf737871, v54
	s_delay_alu instid0(VALU_DEP_4) | instskip(NEXT) | instid1(VALU_DEP_3)
	v_dual_fmac_f32 v53, 0x3f167918, v28 :: v_dual_sub_f32 v58, v25, v58
	v_dual_add_f32 v61, v61, v63 :: v_dual_fmac_f32 v54, 0x3f737871, v28
	s_delay_alu instid0(VALU_DEP_2) | instskip(NEXT) | instid1(VALU_DEP_2)
	v_dual_fmac_f32 v27, 0xbf167918, v28 :: v_dual_add_f32 v58, v58, v65
	v_fmac_f32_e32 v53, 0x3e9e377a, v61
	s_delay_alu instid0(VALU_DEP_3) | instskip(NEXT) | instid1(VALU_DEP_3)
	v_fmac_f32_e32 v54, 0xbf167918, v37
	v_fmac_f32_e32 v27, 0x3e9e377a, v61
	s_delay_alu instid0(VALU_DEP_3) | instskip(SKIP_4) | instid1(VALU_DEP_3)
	v_mul_f32_e32 v28, 0xbf167918, v53
	v_mul_f32_e32 v53, 0x3f4f1bbd, v53
	v_add_f32_e32 v25, v56, v25
	v_add_f32_e32 v56, v48, v26
	v_sub_f32_e32 v26, v48, v26
	v_dual_add_f32 v48, v40, v43 :: v_dual_add_f32 v25, v25, v34
	s_delay_alu instid0(VALU_DEP_1) | instskip(SKIP_1) | instid1(VALU_DEP_2)
	v_dual_add_f32 v24, v25, v24 :: v_dual_mul_f32 v25, 0xbf167918, v27
	v_mul_f32_e32 v27, 0xbf4f1bbd, v27
	v_fmac_f32_e32 v25, 0xbf4f1bbd, v35
	s_delay_alu instid0(VALU_DEP_2) | instskip(NEXT) | instid1(VALU_DEP_4)
	v_fmac_f32_e32 v27, 0x3f167918, v35
	v_dual_fmac_f32 v54, 0x3e9e377a, v58 :: v_dual_add_f32 v35, v51, v24
	s_delay_alu instid0(VALU_DEP_3)
	v_dual_sub_f32 v24, v51, v24 :: v_dual_add_f32 v65, v46, v25
	v_sub_f32_e32 v25, v46, v25
	v_dual_fmac_f32 v64, 0x3f167918, v37 :: v_dual_sub_f32 v51, v42, v44
	v_sub_f32_e32 v71, v60, v27
	v_mul_f32_e32 v37, 0xbf737871, v54
	v_mul_f32_e32 v54, 0xbe9e377a, v54
	s_delay_alu instid0(VALU_DEP_4) | instskip(SKIP_1) | instid1(VALU_DEP_4)
	v_fmac_f32_e32 v64, 0x3e9e377a, v58
	v_fma_f32 v46, -0.5, v48, v7
	v_dual_sub_f32 v48, v38, v23 :: v_dual_fmac_f32 v37, 0xbe9e377a, v88
	v_add_f32_e32 v68, v60, v27
	s_delay_alu instid0(VALU_DEP_2) | instskip(SKIP_1) | instid1(VALU_DEP_1)
	v_dual_mul_f32 v34, 0xbf737871, v64 :: v_dual_add_f32 v63, v6, v37
	v_dual_sub_f32 v6, v6, v37 :: v_dual_add_f32 v37, v7, v39
	v_add_f32_e32 v37, v37, v40
	s_delay_alu instid0(VALU_DEP_1) | instskip(NEXT) | instid1(VALU_DEP_1)
	v_dual_fmac_f32 v54, 0x3f737871, v88 :: v_dual_add_f32 v37, v37, v43
	v_add_f32_e32 v67, v8, v54
	v_fmac_f32_e32 v53, 0x3f167918, v36
	s_delay_alu instid0(VALU_DEP_3) | instskip(NEXT) | instid1(VALU_DEP_2)
	v_dual_add_f32 v27, v37, v47 :: v_dual_fmac_f32 v28, 0x3f4f1bbd, v36
	v_add_f32_e32 v36, v52, v53
	v_dual_sub_f32 v69, v52, v53 :: v_dual_sub_f32 v52, v39, v40
	v_sub_f32_e32 v53, v47, v43
	s_delay_alu instid0(VALU_DEP_1) | instskip(SKIP_4) | instid1(VALU_DEP_4)
	v_add_f32_e32 v52, v52, v53
	v_dual_sub_f32 v53, v40, v39 :: v_dual_fmac_f32 v34, 0x3e9e377a, v62
	v_sub_f32_e32 v40, v40, v43
	v_sub_f32_e32 v8, v8, v54
	v_dual_sub_f32 v54, v43, v47 :: v_dual_sub_f32 v43, v38, v42
	v_add_f32_e32 v61, v57, v34
	v_dual_sub_f32 v34, v57, v34 :: v_dual_add_f32 v57, v39, v47
	s_delay_alu instid0(VALU_DEP_3) | instskip(SKIP_1) | instid1(VALU_DEP_3)
	v_add_f32_e32 v53, v53, v54
	v_sub_f32_e32 v39, v39, v47
	v_fmac_f32_e32 v7, -0.5, v57
	v_dual_add_f32 v57, v9, v38 :: v_dual_add_f32 v58, v50, v28
	v_mul_f32_e32 v64, 0x3e9e377a, v64
	v_sub_f32_e32 v28, v50, v28
	v_fmamk_f32 v50, v48, 0xbf737871, v46
	v_dual_fmac_f32 v46, 0x3f737871, v48 :: v_dual_fmamk_f32 v37, v51, 0x3f737871, v7
	v_fmac_f32_e32 v7, 0xbf737871, v51
	s_delay_alu instid0(VALU_DEP_3) | instskip(NEXT) | instid1(VALU_DEP_3)
	v_fmac_f32_e32 v50, 0xbf167918, v51
	v_dual_fmac_f32 v46, 0x3f167918, v51 :: v_dual_add_f32 v51, v57, v42
	v_fmac_f32_e32 v64, 0x3f737871, v62
	v_fmac_f32_e32 v37, 0xbf167918, v48
	v_sub_f32_e32 v57, v45, v49
	s_delay_alu instid0(VALU_DEP_4) | instskip(NEXT) | instid1(VALU_DEP_3)
	v_add_f32_e32 v47, v51, v44
	v_dual_add_f32 v66, v59, v64 :: v_dual_fmac_f32 v37, 0x3e9e377a, v53
	v_sub_f32_e32 v70, v59, v64
	v_add_f32_e32 v59, v42, v44
	v_add_f32_e32 v51, v38, v23
	v_dual_add_f32 v47, v47, v23 :: v_dual_sub_f32 v38, v42, v38
	v_add_f32_e32 v42, v17, v22
	s_delay_alu instid0(VALU_DEP_4) | instskip(NEXT) | instid1(VALU_DEP_4)
	v_fma_f32 v54, -0.5, v59, v9
	v_fmac_f32_e32 v9, -0.5, v51
	s_delay_alu instid0(VALU_DEP_1) | instskip(SKIP_2) | instid1(VALU_DEP_3)
	v_fmamk_f32 v51, v40, 0xbf737871, v9
	v_fmac_f32_e32 v7, 0x3f167918, v48
	v_fmac_f32_e32 v9, 0x3f737871, v40
	;; [unrolled: 1-line block ×3, first 2 shown]
	s_delay_alu instid0(VALU_DEP_3) | instskip(NEXT) | instid1(VALU_DEP_3)
	v_fmac_f32_e32 v7, 0x3e9e377a, v53
	v_fmac_f32_e32 v9, 0xbf167918, v39
	v_dual_fmac_f32 v50, 0x3e9e377a, v52 :: v_dual_sub_f32 v53, v41, v22
	v_fmac_f32_e32 v46, 0x3e9e377a, v52
	v_dual_sub_f32 v52, v23, v44 :: v_dual_sub_f32 v23, v44, v23
	s_delay_alu instid0(VALU_DEP_1) | instskip(SKIP_3) | instid1(VALU_DEP_3)
	v_dual_sub_f32 v44, v49, v45 :: v_dual_add_f32 v23, v38, v23
	v_add_f32_e32 v38, v42, v41
	v_sub_f32_e32 v42, v21, v55
	v_fmamk_f32 v48, v39, 0x3f737871, v54
	v_dual_fmac_f32 v51, 0x3e9e377a, v23 :: v_dual_add_f32 v38, v38, v45
	v_fmac_f32_e32 v9, 0x3e9e377a, v23
	s_delay_alu instid0(VALU_DEP_2) | instskip(SKIP_2) | instid1(VALU_DEP_1)
	v_dual_fmac_f32 v48, 0x3f167918, v40 :: v_dual_add_f32 v23, v38, v49
	v_sub_f32_e32 v38, v20, v19
	v_fmac_f32_e32 v54, 0xbf737871, v39
	v_fmac_f32_e32 v54, 0xbf167918, v40
	v_add_f32_e32 v40, v41, v45
	s_delay_alu instid0(VALU_DEP_1) | instskip(SKIP_1) | instid1(VALU_DEP_1)
	v_fma_f32 v39, -0.5, v40, v17
	v_add_f32_e32 v40, v22, v49
	v_fmac_f32_e32 v17, -0.5, v40
	s_delay_alu instid0(VALU_DEP_3) | instskip(SKIP_1) | instid1(VALU_DEP_2)
	v_fmamk_f32 v40, v42, 0xbf737871, v39
	v_fmac_f32_e32 v39, 0x3f737871, v42
	v_fmac_f32_e32 v40, 0xbf167918, v38
	s_delay_alu instid0(VALU_DEP_2) | instskip(SKIP_2) | instid1(VALU_DEP_2)
	v_fmac_f32_e32 v39, 0x3f167918, v38
	v_dual_add_f32 v43, v43, v52 :: v_dual_fmamk_f32 v52, v38, 0x3f737871, v17
	v_dual_fmac_f32 v17, 0xbf737871, v38 :: v_dual_add_f32 v38, v20, v19
	v_fmac_f32_e32 v54, 0x3e9e377a, v43
	s_delay_alu instid0(VALU_DEP_3) | instskip(NEXT) | instid1(VALU_DEP_3)
	v_fmac_f32_e32 v52, 0xbf167918, v42
	v_fmac_f32_e32 v17, 0x3f167918, v42
	v_dual_fmac_f32 v48, 0x3e9e377a, v43 :: v_dual_sub_f32 v43, v22, v41
	v_add_f32_e32 v42, v21, v55
	v_fma_f32 v38, -0.5, v38, v18
	v_sub_f32_e32 v41, v41, v45
	v_sub_f32_e32 v45, v55, v19
	v_dual_add_f32 v43, v43, v44 :: v_dual_add_f32 v44, v53, v57
	v_sub_f32_e32 v53, v19, v55
	s_delay_alu instid0(VALU_DEP_2) | instskip(SKIP_1) | instid1(VALU_DEP_4)
	v_fmac_f32_e32 v40, 0x3e9e377a, v43
	v_fmac_f32_e32 v39, 0x3e9e377a, v43
	v_dual_add_f32 v43, v18, v21 :: v_dual_fmac_f32 v52, 0x3e9e377a, v44
	v_fmac_f32_e32 v17, 0x3e9e377a, v44
	v_dual_sub_f32 v44, v21, v20 :: v_dual_sub_f32 v21, v20, v21
	s_delay_alu instid0(VALU_DEP_3) | instskip(SKIP_2) | instid1(VALU_DEP_4)
	v_add_f32_e32 v20, v43, v20
	v_sub_f32_e32 v22, v22, v49
	v_dual_fmac_f32 v18, -0.5, v42 :: v_dual_add_f32 v43, v27, v23
	v_add_f32_e32 v21, v21, v53
	s_delay_alu instid0(VALU_DEP_4) | instskip(NEXT) | instid1(VALU_DEP_3)
	v_add_f32_e32 v19, v20, v19
	v_fmamk_f32 v49, v41, 0xbf737871, v18
	s_delay_alu instid0(VALU_DEP_2) | instskip(SKIP_3) | instid1(VALU_DEP_3)
	v_dual_fmac_f32 v18, 0x3f737871, v41 :: v_dual_add_f32 v19, v19, v55
	v_fmamk_f32 v42, v22, 0x3f737871, v38
	v_fmac_f32_e32 v38, 0xbf737871, v22
	v_add_f32_e32 v44, v44, v45
	v_fmac_f32_e32 v42, 0x3f167918, v41
	s_delay_alu instid0(VALU_DEP_3) | instskip(NEXT) | instid1(VALU_DEP_1)
	v_fmac_f32_e32 v38, 0xbf167918, v41
	v_fmac_f32_e32 v38, 0x3e9e377a, v44
	s_delay_alu instid0(VALU_DEP_1) | instskip(NEXT) | instid1(VALU_DEP_1)
	v_mul_f32_e32 v41, 0xbf167918, v38
	v_dual_mul_f32 v38, 0xbf4f1bbd, v38 :: v_dual_fmac_f32 v41, 0xbf4f1bbd, v39
	v_fmac_f32_e32 v18, 0xbf167918, v22
	s_delay_alu instid0(VALU_DEP_2) | instskip(SKIP_1) | instid1(VALU_DEP_3)
	v_dual_fmac_f32 v49, 0x3f167918, v22 :: v_dual_fmac_f32 v38, 0x3f167918, v39
	v_add_f32_e32 v39, v47, v19
	v_dual_sub_f32 v19, v47, v19 :: v_dual_fmac_f32 v18, 0x3e9e377a, v21
	s_delay_alu instid0(VALU_DEP_3)
	v_fmac_f32_e32 v49, 0x3e9e377a, v21
	v_add_f32_e32 v55, v46, v41
	v_add_f32_e32 v74, v54, v38
	v_sub_f32_e32 v38, v54, v38
	v_mul_f32_e32 v22, 0xbf737871, v18
	v_mul_f32_e32 v18, 0xbe9e377a, v18
	;; [unrolled: 1-line block ×4, first 2 shown]
	s_delay_alu instid0(VALU_DEP_4) | instskip(NEXT) | instid1(VALU_DEP_4)
	v_fmac_f32_e32 v22, 0xbe9e377a, v17
	v_fmac_f32_e32 v18, 0x3f737871, v17
	s_delay_alu instid0(VALU_DEP_4) | instskip(NEXT) | instid1(VALU_DEP_4)
	v_fmac_f32_e32 v21, 0x3e9e377a, v52
	v_fmac_f32_e32 v49, 0x3f737871, v52
	v_sub_f32_e32 v17, v27, v23
	v_add_f32_e32 v53, v7, v22
	v_dual_add_f32 v73, v9, v18 :: v_dual_fmac_f32 v42, 0x3e9e377a, v44
	v_sub_f32_e32 v9, v9, v18
	v_dual_sub_f32 v7, v7, v22 :: v_dual_sub_f32 v22, v46, v41
	v_add3_u32 v41, 0, v13, v14
	s_delay_alu instid0(VALU_DEP_4) | instskip(SKIP_3) | instid1(VALU_DEP_4)
	v_mul_f32_e32 v20, 0xbf167918, v42
	v_mul_f32_e32 v42, 0x3f4f1bbd, v42
	v_mul_u32_u24_e32 v13, 0x190, v15
	v_dual_add_f32 v45, v37, v21 :: v_dual_lshlrev_b32 v14, 2, v16
	v_fmac_f32_e32 v20, 0x3f4f1bbd, v40
	s_delay_alu instid0(VALU_DEP_4)
	v_dual_fmac_f32 v42, 0x3f167918, v40 :: v_dual_sub_f32 v21, v37, v21
	v_add_f32_e32 v72, v51, v49
	ds_store_2addr_b32 v41, v56, v58 offset1:10
	v_dual_add_f32 v44, v50, v20 :: v_dual_add_nc_u32 v15, 0x2200, v1
	v_add_f32_e32 v40, v48, v42
	v_dual_sub_f32 v20, v50, v20 :: v_dual_sub_f32 v23, v48, v42
	v_add3_u32 v42, 0, v13, v14
	ds_store_2addr_b32 v41, v61, v63 offset0:20 offset1:30
	ds_store_2addr_b32 v41, v65, v26 offset0:40 offset1:50
	;; [unrolled: 1-line block ×4, first 2 shown]
	ds_store_2addr_b32 v42, v43, v44 offset1:10
	ds_store_2addr_b32 v42, v45, v53 offset0:20 offset1:30
	ds_store_2addr_b32 v42, v55, v17 offset0:40 offset1:50
	;; [unrolled: 1-line block ×4, first 2 shown]
	v_add_nc_u32_e32 v7, 0xffffff9c, v4
	v_lshl_add_u32 v6, v4, 2, 0
	v_add_nc_u32_e32 v16, 0x2800, v1
	v_lshrrev_b16 v20, 2, v12
	v_add_nc_u32_e32 v14, 0x1800, v1
	v_cndmask_b32_e64 v79, v7, v4, s0
	v_add_nc_u32_e32 v34, 0x80, v6
	v_add_nc_u32_e32 v18, 0x1e00, v1
	;; [unrolled: 1-line block ×4, first 2 shown]
	v_sub_f32_e32 v37, v51, v49
	s_waitcnt lgkmcnt(0)
	s_barrier
	buffer_gl0_inv
	ds_load_2addr_b32 v[27:28], v1 offset1:160
	ds_load_2addr_stride64_b32 v[47:48], v34 offset0:7 offset1:12
	ds_load_2addr_b32 v[49:50], v14 offset0:64 offset1:224
	ds_load_2addr_b32 v[51:52], v15 offset0:64 offset1:224
	;; [unrolled: 1-line block ×3, first 2 shown]
	ds_load_2addr_b32 v[55:56], v16 offset1:160
	ds_load_2addr_stride64_b32 v[57:58], v1 offset0:5 offset1:10
	ds_load_2addr_b32 v[59:60], v18 offset1:160
	ds_load_2addr_b32 v[61:62], v17 offset1:160
	ds_load_2addr_b32 v[63:64], v13 offset0:64 offset1:224
	s_waitcnt lgkmcnt(0)
	s_barrier
	buffer_gl0_inv
	ds_store_2addr_b32 v41, v35, v36 offset1:10
	ds_store_2addr_b32 v41, v66, v67 offset0:20 offset1:30
	ds_store_2addr_b32 v41, v68, v24 offset0:40 offset1:50
	;; [unrolled: 1-line block ×4, first 2 shown]
	v_mul_i32_i24_e32 v7, 3, v79
	v_dual_mov_b32 v8, 0 :: v_dual_and_b32 v21, 0xffff, v20
	ds_store_2addr_b32 v42, v39, v40 offset1:10
	ds_store_2addr_b32 v42, v72, v73 offset0:20 offset1:30
	ds_store_2addr_b32 v42, v74, v19 offset0:40 offset1:50
	;; [unrolled: 1-line block ×4, first 2 shown]
	v_lshrrev_b16 v9, 2, v11
	v_lshlrev_b64 v[19:20], 3, v[7:8]
	v_mul_u32_u24_e32 v7, 0x147b, v21
	s_waitcnt lgkmcnt(0)
	s_barrier
	v_and_b32_e32 v9, 0xffff, v9
	buffer_gl0_inv
	v_lshrrev_b32_e32 v7, 17, v7
	v_add_co_u32 v39, s0, s4, v19
	s_delay_alu instid0(VALU_DEP_1) | instskip(NEXT) | instid1(VALU_DEP_3)
	v_add_co_ci_u32_e64 v40, s0, s5, v20, s0
	v_mul_lo_u16 v23, 0x64, v7
	v_mul_u32_u24_e32 v9, 0x147b, v9
	v_add_nc_u16 v42, v4, 0x1e0
	s_clause 0x1
	global_load_b128 v[19:22], v[39:40], off offset:720
	global_load_b64 v[65:66], v[39:40], off offset:736
	v_sub_nc_u16 v12, v12, v23
	v_lshrrev_b32_e32 v80, 17, v9
	v_cmp_lt_u32_e64 s0, 0x63, v4
	v_mul_u32_u24_e32 v7, 0x640, v7
	s_delay_alu instid0(VALU_DEP_4) | instskip(NEXT) | instid1(VALU_DEP_4)
	v_and_b32_e32 v12, 0xffff, v12
	v_mul_lo_u16 v23, 0x64, v80
	s_delay_alu instid0(VALU_DEP_2) | instskip(NEXT) | instid1(VALU_DEP_1)
	v_mul_u32_u24_e32 v9, 3, v12
	v_lshlrev_b32_e32 v41, 3, v9
	s_delay_alu instid0(VALU_DEP_3) | instskip(SKIP_4) | instid1(VALU_DEP_1)
	v_sub_nc_u16 v9, v11, v23
	s_clause 0x1
	global_load_b128 v[23:26], v41, s[4:5] offset:720
	global_load_b64 v[67:68], v41, s[4:5] offset:736
	v_and_b32_e32 v81, 0xffff, v9
	v_mul_u32_u24_e32 v9, 3, v81
	s_delay_alu instid0(VALU_DEP_1)
	v_lshlrev_b32_e32 v43, 3, v9
	v_lshrrev_b16 v9, 2, v42
	s_clause 0x1
	global_load_b128 v[35:38], v43, s[4:5] offset:720
	global_load_b64 v[69:70], v43, s[4:5] offset:736
	v_and_b32_e32 v9, 0xffff, v9
	s_delay_alu instid0(VALU_DEP_1) | instskip(SKIP_1) | instid1(VALU_DEP_2)
	v_mul_u32_u24_e32 v44, 0x147b, v9
	v_add_nc_u32_e32 v9, 0x280, v4
	v_lshrrev_b32_e32 v82, 17, v44
	s_delay_alu instid0(VALU_DEP_2) | instskip(NEXT) | instid1(VALU_DEP_2)
	v_lshrrev_b16 v44, 2, v9
	v_mul_lo_u16 v39, 0x64, v82
	s_delay_alu instid0(VALU_DEP_2) | instskip(NEXT) | instid1(VALU_DEP_2)
	v_and_b32_e32 v40, 0xffff, v44
	v_sub_nc_u16 v39, v42, v39
	s_delay_alu instid0(VALU_DEP_2) | instskip(NEXT) | instid1(VALU_DEP_2)
	v_mul_u32_u24_e32 v40, 0x147b, v40
	v_and_b32_e32 v83, 0xffff, v39
	s_delay_alu instid0(VALU_DEP_2) | instskip(NEXT) | instid1(VALU_DEP_2)
	v_lshrrev_b32_e32 v84, 17, v40
	v_mul_u32_u24_e32 v39, 3, v83
	s_delay_alu instid0(VALU_DEP_2) | instskip(NEXT) | instid1(VALU_DEP_2)
	v_mul_lo_u16 v40, 0x64, v84
	v_lshlrev_b32_e32 v43, 3, v39
	s_delay_alu instid0(VALU_DEP_2) | instskip(SKIP_4) | instid1(VALU_DEP_1)
	v_sub_nc_u16 v44, v9, v40
	s_clause 0x1
	global_load_b128 v[39:42], v43, s[4:5] offset:720
	global_load_b64 v[71:72], v43, s[4:5] offset:736
	v_and_b32_e32 v85, 0xffff, v44
	v_mul_u32_u24_e32 v44, 3, v85
	s_delay_alu instid0(VALU_DEP_1)
	v_lshlrev_b32_e32 v73, 3, v44
	s_clause 0x1
	global_load_b128 v[43:46], v73, s[4:5] offset:720
	global_load_b64 v[73:74], v73, s[4:5] offset:736
	ds_load_2addr_stride64_b32 v[75:76], v34 offset0:7 offset1:12
	ds_load_2addr_b32 v[77:78], v14 offset0:64 offset1:224
	s_waitcnt vmcnt(9) lgkmcnt(1)
	v_mul_f32_e32 v86, v76, v20
	s_waitcnt lgkmcnt(0)
	v_dual_mul_f32 v20, v48, v20 :: v_dual_mul_f32 v87, v77, v22
	v_mul_f32_e32 v22, v49, v22
	s_delay_alu instid0(VALU_DEP_3) | instskip(NEXT) | instid1(VALU_DEP_3)
	v_fmac_f32_e32 v86, v48, v19
	v_fma_f32 v48, v76, v19, -v20
	ds_load_2addr_b32 v[19:20], v10 offset0:64 offset1:224
	v_fmac_f32_e32 v87, v49, v21
	v_fma_f32 v49, v77, v21, -v22
	s_waitcnt vmcnt(7)
	v_mul_f32_e32 v76, v78, v26
	v_mul_f32_e32 v21, v50, v26
	s_waitcnt lgkmcnt(0)
	s_delay_alu instid0(VALU_DEP_2) | instskip(SKIP_1) | instid1(VALU_DEP_3)
	v_dual_mul_f32 v77, v19, v24 :: v_dual_fmac_f32 v76, v50, v25
	v_mul_f32_e32 v24, v53, v24
	v_fma_f32 v50, v78, v25, -v21
	ds_load_2addr_b32 v[21:22], v18 offset1:160
	v_fmac_f32_e32 v77, v53, v23
	ds_load_2addr_b32 v[25:26], v16 offset1:160
	v_fma_f32 v53, v19, v23, -v24
	ds_load_2addr_b32 v[23:24], v15 offset0:64 offset1:224
	s_waitcnt vmcnt(5)
	v_mul_f32_e32 v78, v20, v36
	v_mul_f32_e32 v19, v54, v36
	s_delay_alu instid0(VALU_DEP_2) | instskip(NEXT) | instid1(VALU_DEP_2)
	v_fmac_f32_e32 v78, v54, v35
	v_fma_f32 v54, v20, v35, -v19
	v_mul_f32_e32 v19, v59, v38
	ds_load_2addr_b32 v[35:36], v1 offset1:160
	s_waitcnt lgkmcnt(3)
	v_mul_f32_e32 v88, v21, v38
	s_delay_alu instid0(VALU_DEP_1) | instskip(SKIP_4) | instid1(VALU_DEP_3)
	v_fmac_f32_e32 v88, v59, v37
	s_waitcnt lgkmcnt(1)
	v_mul_f32_e32 v38, v24, v66
	v_fma_f32 v37, v21, v37, -v19
	v_mul_f32_e32 v19, v52, v66
	v_dual_mul_f32 v21, v55, v68 :: v_dual_fmac_f32 v38, v52, v65
	v_mul_f32_e32 v52, v25, v68
	s_delay_alu instid0(VALU_DEP_3)
	v_fma_f32 v59, v24, v65, -v19
	s_waitcnt vmcnt(4)
	v_mul_f32_e32 v65, v26, v70
	ds_load_2addr_b32 v[19:20], v17 offset1:160
	s_waitcnt lgkmcnt(1)
	v_sub_f32_e32 v50, v36, v50
	v_dual_fmac_f32 v65, v56, v69 :: v_dual_fmac_f32 v52, v55, v67
	v_fma_f32 v55, v25, v67, -v21
	ds_load_2addr_b32 v[24:25], v13 offset0:64 offset1:224
	v_mul_f32_e32 v21, v56, v70
	v_fma_f32 v36, v36, 2.0, -v50
	v_sub_f32_e32 v55, v53, v55
	s_delay_alu instid0(VALU_DEP_3)
	v_fma_f32 v26, v26, v69, -v21
	s_waitcnt vmcnt(3)
	v_mul_f32_e32 v56, v22, v42
	v_mul_f32_e32 v21, v60, v42
	v_fma_f32 v53, v53, 2.0, -v55
	v_sub_f32_e32 v26, v54, v26
	s_delay_alu instid0(VALU_DEP_4) | instskip(NEXT) | instid1(VALU_DEP_4)
	v_fmac_f32_e32 v56, v60, v41
	v_fma_f32 v41, v22, v41, -v21
	s_waitcnt vmcnt(2)
	v_dual_mul_f32 v21, v63, v72 :: v_dual_sub_f32 v66, v36, v53
	s_waitcnt lgkmcnt(0)
	s_delay_alu instid0(VALU_DEP_2) | instskip(NEXT) | instid1(VALU_DEP_2)
	v_dual_sub_f32 v41, v75, v41 :: v_dual_mul_f32 v60, v24, v72
	v_fma_f32 v24, v24, v71, -v21
	ds_load_2addr_stride64_b32 v[21:22], v1 offset0:5 offset1:10
	s_waitcnt vmcnt(0) lgkmcnt(0)
	s_barrier
	buffer_gl0_inv
	v_fma_f32 v36, v36, 2.0, -v66
	v_dual_sub_f32 v37, v21, v37 :: v_dual_mul_f32 v42, v19, v40
	v_mul_f32_e32 v40, v61, v40
	s_delay_alu instid0(VALU_DEP_2) | instskip(NEXT) | instid1(VALU_DEP_3)
	v_fma_f32 v21, v21, 2.0, -v37
	v_fmac_f32_e32 v42, v61, v39
	s_delay_alu instid0(VALU_DEP_3) | instskip(SKIP_1) | instid1(VALU_DEP_1)
	v_fma_f32 v19, v19, v39, -v40
	v_mul_f32_e32 v39, v20, v44
	v_dual_sub_f32 v24, v19, v24 :: v_dual_fmac_f32 v39, v62, v43
	v_mul_f32_e32 v40, v62, v44
	v_lshlrev_b32_e32 v12, 2, v12
	s_delay_alu instid0(VALU_DEP_3) | instskip(NEXT) | instid1(VALU_DEP_3)
	v_fma_f32 v19, v19, 2.0, -v24
	v_fma_f32 v20, v20, v43, -v40
	v_mul_f32_e32 v43, v25, v74
	s_delay_alu instid0(VALU_DEP_4) | instskip(SKIP_1) | instid1(VALU_DEP_3)
	v_add3_u32 v7, 0, v7, v12
	v_mul_u32_u24_e32 v12, 0x640, v80
	v_fmac_f32_e32 v43, v64, v73
	v_dual_sub_f32 v61, v78, v65 :: v_dual_sub_f32 v52, v77, v52
	s_delay_alu instid0(VALU_DEP_2) | instskip(NEXT) | instid1(VALU_DEP_2)
	v_sub_f32_e32 v43, v39, v43
	v_sub_f32_e32 v69, v37, v61
	s_delay_alu instid0(VALU_DEP_3) | instskip(SKIP_1) | instid1(VALU_DEP_4)
	v_sub_f32_e32 v65, v50, v52
	v_sub_f32_e32 v56, v47, v56
	v_fma_f32 v39, v39, 2.0, -v43
	s_delay_alu instid0(VALU_DEP_4) | instskip(NEXT) | instid1(VALU_DEP_4)
	v_fma_f32 v37, v37, 2.0, -v69
	v_fma_f32 v67, v50, 2.0, -v65
	;; [unrolled: 1-line block ×4, first 2 shown]
	v_add_f32_e32 v24, v56, v24
	s_delay_alu instid0(VALU_DEP_3) | instskip(SKIP_1) | instid1(VALU_DEP_3)
	v_sub_f32_e32 v68, v21, v50
	v_fma_f32 v50, v75, 2.0, -v41
	v_fma_f32 v56, v56, 2.0, -v24
	s_delay_alu instid0(VALU_DEP_3) | instskip(NEXT) | instid1(VALU_DEP_3)
	v_fma_f32 v21, v21, 2.0, -v68
	v_sub_f32_e32 v19, v50, v19
	v_fmac_f32_e32 v60, v63, v71
	v_mul_f32_e32 v44, v23, v46
	v_mul_f32_e32 v46, v51, v46
	s_delay_alu instid0(VALU_DEP_4) | instskip(NEXT) | instid1(VALU_DEP_3)
	v_fma_f32 v70, v50, 2.0, -v19
	v_fmac_f32_e32 v44, v51, v45
	s_delay_alu instid0(VALU_DEP_3) | instskip(SKIP_1) | instid1(VALU_DEP_3)
	v_fma_f32 v23, v23, v45, -v46
	v_dual_mul_f32 v45, v64, v74 :: v_dual_sub_f32 v46, v35, v49
	v_dual_sub_f32 v49, v48, v59 :: v_dual_sub_f32 v44, v58, v44
	s_delay_alu instid0(VALU_DEP_3) | instskip(NEXT) | instid1(VALU_DEP_3)
	v_sub_f32_e32 v23, v22, v23
	v_fma_f32 v25, v25, v73, -v45
	v_sub_f32_e32 v38, v86, v38
	s_delay_alu instid0(VALU_DEP_4)
	v_fma_f32 v45, v48, 2.0, -v49
	v_fma_f32 v59, v77, 2.0, -v52
	v_sub_f32_e32 v43, v23, v43
	v_dual_sub_f32 v25, v20, v25 :: v_dual_sub_f32 v40, v27, v87
	v_fma_f32 v51, v86, 2.0, -v38
	v_fma_f32 v50, v58, 2.0, -v44
	v_lshlrev_b32_e32 v58, 2, v79
	s_delay_alu instid0(VALU_DEP_4)
	v_fma_f32 v20, v20, 2.0, -v25
	v_add_f32_e32 v25, v44, v25
	v_fma_f32 v27, v27, 2.0, -v40
	v_add_f32_e32 v49, v40, v49
	v_sub_f32_e32 v39, v50, v39
	v_add_nc_u32_e32 v74, 0x200, v7
	v_fma_f32 v22, v22, 2.0, -v23
	v_dual_sub_f32 v48, v27, v51 :: v_dual_sub_f32 v51, v28, v76
	v_fma_f32 v40, v40, 2.0, -v49
	v_fma_f32 v50, v50, 2.0, -v39
	;; [unrolled: 1-line block ×3, first 2 shown]
	s_delay_alu instid0(VALU_DEP_4) | instskip(SKIP_3) | instid1(VALU_DEP_3)
	v_fma_f32 v27, v27, 2.0, -v48
	v_fma_f32 v28, v28, 2.0, -v51
	v_add_f32_e32 v55, v51, v55
	v_fma_f32 v23, v23, 2.0, -v43
	v_sub_f32_e32 v59, v28, v59
	v_sub_f32_e32 v53, v57, v88
	s_delay_alu instid0(VALU_DEP_4) | instskip(NEXT) | instid1(VALU_DEP_3)
	v_fma_f32 v51, v51, 2.0, -v55
	v_fma_f32 v28, v28, 2.0, -v59
	s_delay_alu instid0(VALU_DEP_3) | instskip(SKIP_2) | instid1(VALU_DEP_2)
	v_fma_f32 v52, v57, 2.0, -v53
	v_fma_f32 v57, v78, 2.0, -v61
	v_add_f32_e32 v26, v53, v26
	v_dual_sub_f32 v54, v52, v57 :: v_dual_sub_f32 v57, v42, v60
	s_delay_alu instid0(VALU_DEP_2) | instskip(NEXT) | instid1(VALU_DEP_2)
	v_fma_f32 v53, v53, 2.0, -v26
	v_fma_f32 v52, v52, 2.0, -v54
	s_delay_alu instid0(VALU_DEP_3) | instskip(SKIP_2) | instid1(VALU_DEP_3)
	v_fma_f32 v42, v42, 2.0, -v57
	v_sub_f32_e32 v71, v41, v57
	v_cndmask_b32_e64 v57, 0, 0x640, s0
	v_sub_f32_e32 v42, v47, v42
	s_delay_alu instid0(VALU_DEP_3) | instskip(NEXT) | instid1(VALU_DEP_3)
	v_fma_f32 v41, v41, 2.0, -v71
	v_add3_u32 v72, 0, v57, v58
	v_lshlrev_b32_e32 v57, 2, v85
	s_delay_alu instid0(VALU_DEP_4) | instskip(NEXT) | instid1(VALU_DEP_3)
	v_fma_f32 v47, v47, 2.0, -v42
	v_add_nc_u32_e32 v73, 0x200, v72
	v_fma_f32 v35, v35, 2.0, -v46
	ds_store_2addr_b32 v72, v27, v40 offset1:100
	ds_store_2addr_b32 v73, v48, v49 offset0:72 offset1:172
	v_lshlrev_b32_e32 v27, 2, v81
	v_mul_u32_u24_e32 v40, 0x640, v82
	v_lshlrev_b32_e32 v48, 2, v83
	v_mul_u32_u24_e32 v49, 0x640, v84
	v_sub_f32_e32 v45, v35, v45
	v_add3_u32 v12, 0, v12, v27
	ds_store_2addr_b32 v7, v28, v51 offset1:100
	v_add3_u32 v40, 0, v40, v48
	v_sub_f32_e32 v38, v46, v38
	v_add3_u32 v75, 0, v49, v57
	v_fma_f32 v35, v35, 2.0, -v45
	v_add_nc_u32_e32 v76, 0x200, v12
	v_add_nc_u32_e32 v77, 0x200, v40
	v_fma_f32 v46, v46, 2.0, -v38
	v_add_nc_u32_e32 v78, 0x200, v75
	ds_store_2addr_b32 v74, v59, v55 offset0:72 offset1:172
	ds_store_2addr_b32 v12, v52, v53 offset1:100
	ds_store_2addr_b32 v76, v54, v26 offset0:72 offset1:172
	ds_store_2addr_b32 v40, v47, v56 offset1:100
	;; [unrolled: 2-line block ×3, first 2 shown]
	ds_store_2addr_b32 v78, v39, v25 offset0:72 offset1:172
	s_waitcnt lgkmcnt(0)
	s_barrier
	buffer_gl0_inv
	ds_load_2addr_b32 v[27:28], v1 offset1:160
	ds_load_2addr_stride64_b32 v[47:48], v34 offset0:7 offset1:12
	ds_load_2addr_b32 v[49:50], v14 offset0:64 offset1:224
	ds_load_2addr_b32 v[51:52], v15 offset0:64 offset1:224
	;; [unrolled: 1-line block ×3, first 2 shown]
	ds_load_2addr_b32 v[55:56], v16 offset1:160
	ds_load_2addr_stride64_b32 v[57:58], v1 offset0:5 offset1:10
	ds_load_2addr_b32 v[59:60], v18 offset1:160
	ds_load_2addr_b32 v[61:62], v17 offset1:160
	ds_load_2addr_b32 v[63:64], v13 offset0:64 offset1:224
	s_waitcnt lgkmcnt(0)
	s_barrier
	buffer_gl0_inv
	ds_store_2addr_b32 v72, v35, v46 offset1:100
	ds_store_2addr_b32 v73, v45, v38 offset0:72 offset1:172
	ds_store_2addr_b32 v7, v36, v67 offset1:100
	ds_store_2addr_b32 v74, v66, v65 offset0:72 offset1:172
	ds_store_2addr_b32 v12, v21, v37 offset1:100
	v_mul_u32_u24_e32 v7, 3, v4
	v_sub_f32_e32 v20, v22, v20
	s_delay_alu instid0(VALU_DEP_2) | instskip(NEXT) | instid1(VALU_DEP_2)
	v_lshlrev_b32_e32 v44, 3, v7
	v_fma_f32 v22, v22, 2.0, -v20
	ds_store_2addr_b32 v76, v68, v69 offset0:72 offset1:172
	ds_store_2addr_b32 v40, v70, v41 offset1:100
	ds_store_2addr_b32 v77, v19, v71 offset0:72 offset1:172
	ds_store_2addr_b32 v75, v22, v23 offset1:100
	ds_store_2addr_b32 v78, v20, v43 offset0:72 offset1:172
	s_waitcnt lgkmcnt(0)
	s_barrier
	buffer_gl0_inv
	s_clause 0x1
	global_load_b64 v[65:66], v44, s[4:5] offset:3136
	global_load_b128 v[19:22], v44, s[4:5] offset:3120
	v_add_co_u32 v23, s0, s4, v44
	v_add_nc_u32_e32 v7, 0xffffffb0, v4
	v_add_co_ci_u32_e64 v24, null, s5, 0, s0
	v_cmp_gt_u32_e64 s0, 0x50, v4
	v_add_nc_u32_e32 v71, 0x1680, v44
	s_delay_alu instid0(VALU_DEP_2) | instskip(SKIP_1) | instid1(VALU_DEP_1)
	v_cndmask_b32_e64 v87, v7, v11, s0
	v_add_co_u32 v11, s0, 0x1000, v23
	v_add_co_ci_u32_e64 v12, s0, 0, v24, s0
	s_delay_alu instid0(VALU_DEP_3) | instskip(SKIP_1) | instid1(VALU_DEP_1)
	v_mul_i32_i24_e32 v7, 3, v87
	v_add_co_u32 v35, s0, 0x1b30, v23
	v_add_co_ci_u32_e64 v36, s0, 0, v24, s0
	s_delay_alu instid0(VALU_DEP_3)
	v_lshlrev_b64 v[37:38], 3, v[7:8]
	s_clause 0x1
	global_load_b128 v[23:26], v[11:12], off offset:2864
	global_load_b64 v[11:12], v[35:36], off offset:16
	v_add_nc_u32_e32 v7, 0x780, v44
	v_add_co_u32 v39, s0, s4, v37
	s_delay_alu instid0(VALU_DEP_1)
	v_add_co_ci_u32_e64 v40, s0, s5, v38, s0
	v_cmp_lt_u32_e64 s0, 0x4f, v4
	s_clause 0x5
	global_load_b128 v[35:38], v[39:40], off offset:3120
	global_load_b64 v[67:68], v[39:40], off offset:3136
	global_load_b128 v[39:42], v7, s[4:5] offset:3120
	global_load_b64 v[69:70], v7, s[4:5] offset:3136
	global_load_b128 v[43:46], v71, s[4:5] offset:3120
	global_load_b64 v[71:72], v71, s[4:5] offset:3136
	ds_load_2addr_stride64_b32 v[73:74], v34 offset0:7 offset1:12
	ds_load_2addr_b32 v[75:76], v14 offset0:64 offset1:224
	ds_load_2addr_b32 v[14:15], v15 offset0:64 offset1:224
	;; [unrolled: 1-line block ×3, first 2 shown]
	ds_load_2addr_b32 v[79:80], v1 offset1:160
	ds_load_2addr_b32 v[81:82], v16 offset1:160
	ds_load_2addr_stride64_b32 v[83:84], v1 offset0:5 offset1:10
	ds_load_2addr_b32 v[85:86], v18 offset1:160
	ds_load_2addr_b32 v[16:17], v17 offset1:160
	s_waitcnt vmcnt(8) lgkmcnt(8)
	v_mul_f32_e32 v7, v74, v20
	v_mul_f32_e32 v10, v48, v20
	s_waitcnt lgkmcnt(7)
	s_delay_alu instid0(VALU_DEP_2) | instskip(NEXT) | instid1(VALU_DEP_1)
	v_dual_mul_f32 v20, v75, v22 :: v_dual_fmac_f32 v7, v48, v19
	v_fmac_f32_e32 v20, v49, v21
	s_delay_alu instid0(VALU_DEP_1) | instskip(NEXT) | instid1(VALU_DEP_1)
	v_sub_f32_e32 v20, v27, v20
	v_fma_f32 v27, v27, 2.0, -v20
	v_mul_f32_e32 v18, v49, v22
	s_waitcnt vmcnt(6) lgkmcnt(3)
	v_dual_mul_f32 v22, v15, v66 :: v_dual_mul_f32 v49, v81, v12
	s_delay_alu instid0(VALU_DEP_1) | instskip(SKIP_1) | instid1(VALU_DEP_3)
	v_fmac_f32_e32 v22, v52, v65
	v_mul_f32_e32 v12, v55, v12
	v_fmac_f32_e32 v49, v55, v11
	s_delay_alu instid0(VALU_DEP_3) | instskip(SKIP_1) | instid1(VALU_DEP_4)
	v_sub_f32_e32 v22, v7, v22
	v_mul_f32_e32 v48, v52, v66
	v_fma_f32 v11, v81, v11, -v12
	s_delay_alu instid0(VALU_DEP_3) | instskip(SKIP_2) | instid1(VALU_DEP_2)
	v_fma_f32 v7, v7, 2.0, -v22
	s_waitcnt vmcnt(1) lgkmcnt(0)
	v_mul_f32_e32 v52, v17, v44
	v_dual_mul_f32 v44, v62, v44 :: v_dual_sub_f32 v7, v27, v7
	v_fma_f32 v21, v75, v21, -v18
	s_delay_alu instid0(VALU_DEP_3) | instskip(NEXT) | instid1(VALU_DEP_3)
	v_fmac_f32_e32 v52, v62, v43
	v_fma_f32 v17, v17, v43, -v44
	v_mul_f32_e32 v43, v51, v46
	v_fma_f32 v10, v74, v19, -v10
	ds_load_2addr_b32 v[18:19], v13 offset0:64 offset1:224
	v_fma_f32 v13, v15, v65, -v48
	v_mul_f32_e32 v15, v77, v24
	v_dual_mul_f32 v24, v53, v24 :: v_dual_sub_f32 v21, v79, v21
	v_fma_f32 v27, v27, 2.0, -v7
	s_delay_alu instid0(VALU_DEP_4) | instskip(NEXT) | instid1(VALU_DEP_4)
	v_sub_f32_e32 v13, v10, v13
	v_fmac_f32_e32 v15, v53, v23
	s_delay_alu instid0(VALU_DEP_4)
	v_fma_f32 v23, v77, v23, -v24
	s_waitcnt vmcnt(0) lgkmcnt(0)
	s_barrier
	v_fma_f32 v10, v10, 2.0, -v13
	v_add_f32_e32 v13, v20, v13
	v_sub_f32_e32 v11, v23, v11
	buffer_gl0_inv
	v_add_nc_u32_e32 v62, 0x2600, v6
	v_fma_f32 v20, v20, 2.0, -v13
	v_fma_f32 v23, v23, 2.0, -v11
	v_mul_f32_e32 v48, v76, v26
	v_mul_f32_e32 v26, v50, v26
	;; [unrolled: 1-line block ×3, first 2 shown]
	s_delay_alu instid0(VALU_DEP_3) | instskip(NEXT) | instid1(VALU_DEP_3)
	v_fmac_f32_e32 v48, v50, v25
	v_fma_f32 v24, v76, v25, -v26
	v_mul_f32_e32 v25, v78, v36
	v_mul_f32_e32 v26, v54, v36
	;; [unrolled: 1-line block ×5, first 2 shown]
	v_fmac_f32_e32 v25, v54, v35
	v_fma_f32 v12, v78, v35, -v26
	v_mul_f32_e32 v35, v82, v68
	v_fma_f32 v26, v85, v37, -v38
	v_fmac_f32_e32 v50, v60, v41
	v_mul_f32_e32 v38, v16, v40
	v_mul_f32_e32 v40, v61, v40
	v_sub_f32_e32 v24, v80, v24
	v_dual_fmac_f32 v35, v56, v67 :: v_dual_sub_f32 v26, v83, v26
	s_delay_alu instid0(VALU_DEP_4) | instskip(NEXT) | instid1(VALU_DEP_4)
	v_fmac_f32_e32 v38, v61, v39
	v_fma_f32 v16, v16, v39, -v40
	v_mul_f32_e32 v39, v60, v42
	v_mul_f32_e32 v42, v63, v70
	v_dual_fmac_f32 v44, v64, v71 :: v_dual_add_nc_u32 v61, 0x2000, v6
	v_add_nc_u32_e32 v60, 0x1a00, v6
	s_delay_alu instid0(VALU_DEP_4) | instskip(SKIP_3) | instid1(VALU_DEP_3)
	v_fma_f32 v39, v86, v41, -v39
	v_dual_mul_f32 v41, v14, v46 :: v_dual_mul_f32 v46, v64, v72
	v_fma_f32 v14, v14, v45, -v43
	v_dual_fmac_f32 v36, v59, v37 :: v_dual_mul_f32 v37, v56, v68
	v_fmac_f32_e32 v41, v51, v45
	s_delay_alu instid0(VALU_DEP_4)
	v_fma_f32 v19, v19, v71, -v46
	v_sub_f32_e32 v46, v21, v22
	v_fma_f32 v22, v80, 2.0, -v24
	v_fma_f32 v37, v82, v67, -v37
	v_sub_f32_e32 v43, v28, v48
	v_sub_f32_e32 v45, v15, v49
	v_fma_f32 v48, v21, 2.0, -v46
	v_sub_f32_e32 v49, v22, v23
	v_sub_f32_e32 v23, v25, v35
	v_dual_sub_f32 v19, v17, v19 :: v_dual_mul_f32 v40, v18, v70
	v_fma_f32 v18, v18, v69, -v42
	v_fma_f32 v42, v79, 2.0, -v21
	v_dual_sub_f32 v21, v57, v36 :: v_dual_sub_f32 v36, v12, v37
	v_fma_f32 v25, v25, 2.0, -v23
	v_fmac_f32_e32 v40, v63, v69
	v_fma_f32 v15, v15, 2.0, -v45
	s_delay_alu instid0(VALU_DEP_4)
	v_fma_f32 v35, v57, 2.0, -v21
	v_add_f32_e32 v11, v43, v11
	v_sub_f32_e32 v37, v24, v45
	v_fma_f32 v45, v83, 2.0, -v26
	v_fma_f32 v12, v12, 2.0, -v36
	v_sub_f32_e32 v25, v35, v25
	v_fma_f32 v28, v28, 2.0, -v43
	v_fma_f32 v51, v22, 2.0, -v49
	;; [unrolled: 1-line block ×4, first 2 shown]
	v_sub_f32_e32 v53, v45, v12
	v_fma_f32 v12, v35, 2.0, -v25
	v_dual_add_f32 v24, v21, v36 :: v_dual_sub_f32 v35, v47, v50
	v_dual_sub_f32 v36, v73, v39 :: v_dual_sub_f32 v39, v38, v40
	v_sub_f32_e32 v18, v16, v18
	v_sub_f32_e32 v40, v26, v23
	s_delay_alu instid0(VALU_DEP_4) | instskip(NEXT) | instid1(VALU_DEP_4)
	v_fma_f32 v23, v47, 2.0, -v35
	v_fma_f32 v47, v73, 2.0, -v36
	;; [unrolled: 1-line block ×6, first 2 shown]
	s_delay_alu instid0(VALU_DEP_4) | instskip(NEXT) | instid1(VALU_DEP_4)
	v_dual_sub_f32 v15, v28, v15 :: v_dual_sub_f32 v26, v23, v38
	v_sub_f32_e32 v38, v47, v16
	v_dual_sub_f32 v16, v58, v41 :: v_dual_sub_f32 v41, v84, v14
	v_sub_f32_e32 v14, v52, v44
	v_dual_add_f32 v18, v35, v18 :: v_dual_sub_f32 v39, v36, v39
	s_delay_alu instid0(VALU_DEP_3)
	v_add_f32_e32 v19, v16, v19
	v_fma_f32 v44, v58, 2.0, -v16
	v_fma_f32 v54, v84, 2.0, -v41
	v_fma_f32 v52, v52, 2.0, -v14
	v_fma_f32 v28, v28, 2.0, -v15
	v_fma_f32 v56, v36, 2.0, -v39
	s_delay_alu instid0(VALU_DEP_4) | instskip(NEXT) | instid1(VALU_DEP_4)
	v_dual_sub_f32 v55, v54, v17 :: v_dual_lshlrev_b32 v36, 2, v87
	v_sub_f32_e32 v52, v44, v52
	v_fma_f32 v17, v35, 2.0, -v18
	v_add_nc_u32_e32 v57, 0x600, v1
	v_add_nc_u32_e32 v58, 0xc00, v1
	;; [unrolled: 1-line block ×3, first 2 shown]
	v_fma_f32 v35, v44, 2.0, -v52
	v_fma_f32 v44, v54, 2.0, -v55
	v_sub_f32_e32 v54, v41, v14
	v_fma_f32 v14, v16, 2.0, -v19
	v_cndmask_b32_e64 v16, 0, 0x1900, s0
	ds_store_2addr_b32 v1, v27, v28 offset1:160
	ds_store_2addr_b32 v57, v20, v22 offset0:16 offset1:176
	ds_store_2addr_b32 v58, v7, v15 offset0:32 offset1:192
	;; [unrolled: 1-line block ×3, first 2 shown]
	v_fma_f32 v21, v21, 2.0, -v24
	v_fma_f32 v23, v23, 2.0, -v26
	v_add_nc_u32_e32 v6, 0x2c00, v6
	v_add3_u32 v7, 0, v16, v36
	ds_store_b32 v7, v12
	ds_store_b32 v7, v21 offset:1600
	ds_store_b32 v7, v25 offset:3200
	;; [unrolled: 1-line block ×3, first 2 shown]
	ds_store_2addr_b32 v60, v23, v35 offset0:16 offset1:176
	ds_store_2addr_b32 v61, v17, v14 offset0:32 offset1:192
	;; [unrolled: 1-line block ×4, first 2 shown]
	s_waitcnt lgkmcnt(0)
	s_barrier
	buffer_gl0_inv
	ds_load_2addr_b32 v[11:12], v1 offset1:160
	ds_load_2addr_stride64_b32 v[17:18], v1 offset0:15 offset1:25
	ds_load_2addr_b32 v[21:22], v29 offset0:32 offset1:192
	ds_load_2addr_stride64_b32 v[13:14], v1 offset0:5 offset1:10
	ds_load_2addr_stride64_b32 v[15:16], v34 offset0:7 offset1:12
	ds_load_2addr_b32 v[23:24], v30 offset0:32 offset1:192
	ds_load_2addr_b32 v[25:26], v32 offset0:32 offset1:192
	ds_load_2addr_stride64_b32 v[19:20], v34 offset0:17 offset1:22
	ds_load_2addr_b32 v[27:28], v33 offset0:32 offset1:192
	ds_load_b32 v35, v31
	ds_load_b32 v36, v1 offset:12160
	v_sub_f32_e32 v10, v42, v10
	v_fma_f32 v45, v45, 2.0, -v53
	v_fma_f32 v47, v47, 2.0, -v38
	;; [unrolled: 1-line block ×3, first 2 shown]
	s_waitcnt lgkmcnt(0)
	v_fma_f32 v42, v42, 2.0, -v10
	s_barrier
	buffer_gl0_inv
	ds_store_2addr_b32 v1, v42, v51 offset1:160
	ds_store_2addr_b32 v57, v48, v43 offset0:16 offset1:176
	ds_store_2addr_b32 v58, v10, v49 offset0:32 offset1:192
	;; [unrolled: 1-line block ×3, first 2 shown]
	ds_store_b32 v7, v45
	ds_store_b32 v7, v50 offset:1600
	ds_store_b32 v7, v53 offset:3200
	;; [unrolled: 1-line block ×3, first 2 shown]
	ds_store_2addr_b32 v60, v47, v44 offset0:16 offset1:176
	ds_store_2addr_b32 v61, v56, v41 offset0:32 offset1:192
	ds_store_2addr_b32 v62, v38, v55 offset0:48 offset1:208
	ds_store_2addr_b32 v6, v39, v54 offset0:64 offset1:224
	s_waitcnt lgkmcnt(0)
	s_barrier
	buffer_gl0_inv
	s_and_saveexec_b32 s0, vcc_lo
	s_cbranch_execz .LBB0_15
; %bb.14:
	v_dual_mov_b32 v6, v8 :: v_dual_add_nc_u32 v7, 0x5a0, v4
	v_dual_mov_b32 v42, v8 :: v_dual_add_nc_u32 v37, 0x3c0, v4
	v_add_nc_u32_e32 v41, 0x460, v4
	s_delay_alu instid0(VALU_DEP_3) | instskip(NEXT) | instid1(VALU_DEP_4)
	v_lshlrev_b64 v[38:39], 3, v[7:8]
	v_lshlrev_b64 v[5:6], 3, v[5:6]
	v_add_nc_u32_e32 v40, 0x320, v4
	v_mul_hi_u32 v72, 0x51eb851f, v37
	v_mul_hi_u32 v73, 0x51eb851f, v7
	v_add_co_u32 v10, vcc_lo, s4, v38
	v_add_co_ci_u32_e32 v38, vcc_lo, s5, v39, vcc_lo
	s_delay_alu instid0(VALU_DEP_2) | instskip(NEXT) | instid1(VALU_DEP_2)
	v_add_co_u32 v43, vcc_lo, 0x3000, v10
	v_add_co_ci_u32_e32 v44, vcc_lo, 0, v38, vcc_lo
	v_add_co_u32 v10, vcc_lo, s4, v5
	v_add_co_ci_u32_e32 v38, vcc_lo, s5, v6, vcc_lo
	v_lshrrev_b32_e32 v79, 9, v73
	s_delay_alu instid0(VALU_DEP_3) | instskip(NEXT) | instid1(VALU_DEP_3)
	v_add_co_u32 v45, vcc_lo, 0x3000, v10
	v_add_co_ci_u32_e32 v46, vcc_lo, 0, v38, vcc_lo
	v_mov_b32_e32 v38, v8
	v_lshlrev_b64 v[5:6], 3, v[41:42]
	v_mov_b32_e32 v41, v8
	v_mul_hi_u32 v71, 0x51eb851f, v40
	v_mad_u32_u24 v7, 0x640, v79, v7
	s_delay_alu instid0(VALU_DEP_4) | instskip(SKIP_2) | instid1(VALU_DEP_3)
	v_add_co_u32 v10, vcc_lo, s4, v5
	v_add_co_ci_u32_e32 v39, vcc_lo, s5, v6, vcc_lo
	v_lshlrev_b64 v[5:6], 3, v[37:38]
	v_add_co_u32 v38, vcc_lo, 0x3000, v10
	s_delay_alu instid0(VALU_DEP_3) | instskip(NEXT) | instid1(VALU_DEP_3)
	v_add_co_ci_u32_e32 v39, vcc_lo, 0, v39, vcc_lo
	v_add_co_u32 v10, vcc_lo, s4, v5
	s_delay_alu instid0(VALU_DEP_4) | instskip(SKIP_1) | instid1(VALU_DEP_3)
	v_add_co_ci_u32_e32 v42, vcc_lo, s5, v6, vcc_lo
	v_lshlrev_b64 v[5:6], 3, v[40:41]
	v_add_co_u32 v41, vcc_lo, 0x3000, v10
	s_delay_alu instid0(VALU_DEP_3) | instskip(NEXT) | instid1(VALU_DEP_3)
	v_add_co_ci_u32_e32 v42, vcc_lo, 0, v42, vcc_lo
	v_add_co_u32 v5, vcc_lo, s4, v5
	s_delay_alu instid0(VALU_DEP_4) | instskip(NEXT) | instid1(VALU_DEP_2)
	v_add_co_ci_u32_e32 v6, vcc_lo, s5, v6, vcc_lo
	v_add_co_u32 v47, vcc_lo, 0x3000, v5
	s_delay_alu instid0(VALU_DEP_2)
	v_add_co_ci_u32_e32 v48, vcc_lo, 0, v6, vcc_lo
	s_clause 0x4
	global_load_b64 v[43:44], v[43:44], off offset:432
	global_load_b64 v[45:46], v[45:46], off offset:432
	;; [unrolled: 1-line block ×5, first 2 shown]
	v_mov_b32_e32 v10, v8
	v_mov_b32_e32 v5, v8
	s_delay_alu instid0(VALU_DEP_2) | instskip(NEXT) | instid1(VALU_DEP_2)
	v_lshlrev_b64 v[9:10], 3, v[9:10]
	v_lshlrev_b64 v[4:5], 3, v[4:5]
	s_delay_alu instid0(VALU_DEP_2) | instskip(NEXT) | instid1(VALU_DEP_3)
	v_add_co_u32 v6, vcc_lo, s4, v9
	v_add_co_ci_u32_e32 v10, vcc_lo, s5, v10, vcc_lo
	s_delay_alu instid0(VALU_DEP_3) | instskip(NEXT) | instid1(VALU_DEP_4)
	v_add_co_u32 v51, vcc_lo, s4, v4
	v_add_co_ci_u32_e32 v52, vcc_lo, s5, v5, vcc_lo
	s_delay_alu instid0(VALU_DEP_4) | instskip(NEXT) | instid1(VALU_DEP_4)
	v_add_co_u32 v9, vcc_lo, 0x3000, v6
	v_add_co_ci_u32_e32 v10, vcc_lo, 0, v10, vcc_lo
	s_delay_alu instid0(VALU_DEP_4) | instskip(NEXT) | instid1(VALU_DEP_4)
	v_add_co_u32 v49, vcc_lo, 0x4000, v51
	v_add_co_ci_u32_e32 v50, vcc_lo, 0, v52, vcc_lo
	v_add_co_u32 v51, vcc_lo, 0x3000, v51
	v_add_co_ci_u32_e32 v52, vcc_lo, 0, v52, vcc_lo
	s_clause 0x4
	global_load_b64 v[9:10], v[9:10], off offset:432
	global_load_b64 v[49:50], v[49:50], off offset:176
	;; [unrolled: 1-line block ×5, first 2 shown]
	ds_load_2addr_stride64_b32 v[57:58], v34 offset0:17 offset1:22
	ds_load_b32 v87, v1 offset:12160
	ds_load_b32 v88, v31
	ds_load_2addr_b32 v[59:60], v33 offset0:32 offset1:192
	ds_load_2addr_stride64_b32 v[61:62], v1 offset0:15 offset1:25
	ds_load_2addr_b32 v[31:32], v32 offset0:32 offset1:192
	ds_load_2addr_stride64_b32 v[33:34], v34 offset0:7 offset1:12
	ds_load_2addr_stride64_b32 v[63:64], v1 offset0:5 offset1:10
	ds_load_2addr_b32 v[65:66], v30 offset0:32 offset1:192
	ds_load_2addr_b32 v[29:30], v29 offset0:32 offset1:192
	ds_load_2addr_b32 v[67:68], v1 offset1:160
	v_mov_b32_e32 v1, v8
	v_add_co_u32 v81, vcc_lo, s8, v2
	v_add_co_ci_u32_e32 v82, vcc_lo, s9, v3, vcc_lo
	s_delay_alu instid0(VALU_DEP_3) | instskip(NEXT) | instid1(VALU_DEP_3)
	v_lshlrev_b64 v[0:1], 3, v[0:1]
	v_add_co_u32 v3, vcc_lo, v81, v4
	s_delay_alu instid0(VALU_DEP_3) | instskip(SKIP_1) | instid1(VALU_DEP_4)
	v_add_co_ci_u32_e32 v4, vcc_lo, v82, v5, vcc_lo
	v_lshrrev_b32_e32 v5, 9, v72
	v_add_co_u32 v69, vcc_lo, v81, v0
	v_lshrrev_b32_e32 v0, 9, v71
	v_add_co_ci_u32_e32 v70, vcc_lo, v82, v1, vcc_lo
	s_delay_alu instid0(VALU_DEP_4) | instskip(SKIP_1) | instid1(VALU_DEP_4)
	v_mad_u32_u24 v5, 0x640, v5, v37
	v_mov_b32_e32 v6, v8
	v_mad_u32_u24 v1, 0x640, v0, v40
	v_add_co_u32 v71, vcc_lo, 0x3000, v3
	v_add_co_ci_u32_e32 v72, vcc_lo, 0, v4, vcc_lo
	v_add_co_u32 v73, vcc_lo, 0x4000, v3
	v_add_co_ci_u32_e32 v74, vcc_lo, 0, v4, vcc_lo
	;; [unrolled: 2-line block ×5, first 2 shown]
	s_waitcnt vmcnt(8)
	v_mul_f32_e32 v37, v28, v46
	s_waitcnt lgkmcnt(7)
	v_mul_f32_e32 v40, v60, v46
	s_waitcnt vmcnt(7)
	v_mul_f32_e32 v46, v27, v39
	v_dual_mul_f32 v39, v59, v39 :: v_dual_mov_b32 v2, v8
	v_fma_f32 v37, v45, v60, -v37
	v_fmac_f32_e32 v40, v28, v45
	s_delay_alu instid0(VALU_DEP_4) | instskip(NEXT) | instid1(VALU_DEP_4)
	v_fma_f32 v45, v38, v59, -v46
	v_fmac_f32_e32 v39, v27, v38
	v_lshlrev_b64 v[0:1], 3, v[1:2]
	v_mul_f32_e32 v2, v36, v44
	v_mul_f32_e32 v44, v87, v44
	s_waitcnt vmcnt(5)
	v_mul_f32_e32 v46, v25, v48
	s_waitcnt lgkmcnt(5)
	v_mul_f32_e32 v48, v31, v48
	v_lshlrev_b64 v[7:8], 3, v[7:8]
	v_add_co_u32 v0, vcc_lo, v81, v0
	v_fmac_f32_e32 v44, v36, v43
	v_mul_f32_e32 v28, v26, v42
	v_mul_f32_e32 v42, v32, v42
	v_fma_f32 v31, v47, v31, -v46
	v_add_co_ci_u32_e32 v1, vcc_lo, v82, v1, vcc_lo
	s_delay_alu instid0(VALU_DEP_4)
	v_fma_f32 v28, v41, v32, -v28
	s_waitcnt vmcnt(4)
	v_dual_mul_f32 v27, v24, v10 :: v_dual_fmac_f32 v48, v25, v47
	s_waitcnt vmcnt(2)
	v_mul_f32_e32 v59, v22, v54
	s_waitcnt lgkmcnt(2)
	v_mul_f32_e32 v38, v66, v10
	v_mul_f32_e32 v10, v23, v50
	v_lshlrev_b64 v[5:6], 3, v[5:6]
	s_waitcnt lgkmcnt(1)
	v_mul_f32_e32 v36, v30, v54
	v_fma_f32 v46, v53, v30, -v59
	v_fmac_f32_e32 v42, v26, v41
	s_waitcnt vmcnt(0)
	v_mul_f32_e32 v26, v18, v52
	v_mul_f32_e32 v52, v62, v52
	v_add_co_u32 v5, vcc_lo, v81, v5
	v_add_co_ci_u32_e32 v6, vcc_lo, v82, v6, vcc_lo
	s_delay_alu instid0(VALU_DEP_4) | instskip(SKIP_4) | instid1(VALU_DEP_4)
	v_fma_f32 v47, v51, v62, -v26
	v_mul_f32_e32 v50, v65, v50
	v_add_co_u32 v7, vcc_lo, v81, v7
	v_fma_f32 v32, v9, v66, -v27
	v_fmac_f32_e32 v52, v18, v51
	v_fmac_f32_e32 v50, v23, v49
	v_sub_f32_e32 v23, v19, v39
	v_fma_f32 v2, v43, v87, -v2
	v_mul_f32_e32 v43, v21, v56
	v_mul_f32_e32 v54, v29, v56
	v_sub_f32_e32 v26, v61, v28
	v_dual_sub_f32 v28, v34, v31 :: v_dual_sub_f32 v31, v15, v50
	s_delay_alu instid0(VALU_DEP_4) | instskip(NEXT) | instid1(VALU_DEP_4)
	v_fma_f32 v43, v55, v29, -v43
	v_dual_fmac_f32 v54, v21, v55 :: v_dual_sub_f32 v27, v16, v48
	v_fmac_f32_e32 v38, v24, v9
	s_waitcnt lgkmcnt(0)
	s_delay_alu instid0(VALU_DEP_3)
	v_dual_fmac_f32 v36, v22, v53 :: v_dual_sub_f32 v39, v68, v43
	v_fma_f32 v41, v49, v65, -v10
	v_add_co_ci_u32_e32 v8, vcc_lo, v82, v8, vcc_lo
	v_add_co_u32 v81, vcc_lo, 0x3000, v0
	v_add_co_ci_u32_e32 v82, vcc_lo, 0, v1, vcc_lo
	v_sub_f32_e32 v22, v88, v37
	v_dual_sub_f32 v30, v64, v32 :: v_dual_sub_f32 v29, v14, v38
	v_dual_sub_f32 v32, v33, v41 :: v_dual_sub_f32 v37, v63, v46
	v_sub_f32_e32 v25, v17, v42
	v_dual_sub_f32 v21, v35, v40 :: v_dual_sub_f32 v38, v12, v54
	v_sub_f32_e32 v41, v67, v47
	v_sub_f32_e32 v40, v11, v52
	v_add_co_u32 v83, vcc_lo, 0x3000, v5
	v_dual_sub_f32 v10, v58, v2 :: v_dual_sub_f32 v9, v20, v44
	v_sub_f32_e32 v24, v57, v45
	v_sub_f32_e32 v36, v13, v36
	v_add_co_ci_u32_e32 v84, vcc_lo, 0, v6, vcc_lo
	v_add_co_u32 v85, vcc_lo, 0x3000, v7
	v_fma_f32 v48, v12, 2.0, -v38
	v_fma_f32 v12, v67, 2.0, -v41
	;; [unrolled: 1-line block ×3, first 2 shown]
	v_add_co_ci_u32_e32 v86, vcc_lo, 0, v8, vcc_lo
	v_fma_f32 v43, v58, 2.0, -v10
	v_fma_f32 v42, v20, 2.0, -v9
	;; [unrolled: 1-line block ×17, first 2 shown]
	s_clause 0x13
	global_store_b64 v[71:72], v[40:41], off offset:512
	global_store_b64 v[71:72], v[38:39], off offset:1792
	;; [unrolled: 1-line block ×4, first 2 shown]
	global_store_b64 v[3:4], v[11:12], off
	global_store_b64 v[3:4], v[48:49], off offset:1280
	global_store_b64 v[3:4], v[13:14], off offset:2560
	;; [unrolled: 1-line block ×5, first 2 shown]
	global_store_b64 v[0:1], v[34:35], off
	global_store_b64 v[81:82], v[27:28], off offset:512
	global_store_b64 v[5:6], v[17:18], off
	global_store_b64 v[83:84], v[25:26], off offset:512
	global_store_b64 v[77:78], v[19:20], off offset:768
	global_store_b64 v[79:80], v[23:24], off offset:1280
	global_store_b64 v[69:70], v[44:45], off
	global_store_b64 v[79:80], v[21:22], off offset:2560
	global_store_b64 v[7:8], v[42:43], off
	global_store_b64 v[85:86], v[9:10], off offset:512
.LBB0_15:
	s_nop 0
	s_sendmsg sendmsg(MSG_DEALLOC_VGPRS)
	s_endpgm
	.section	.rodata,"a",@progbits
	.p2align	6, 0x0
	.amdhsa_kernel fft_rtc_back_len3200_factors_10_10_4_4_2_wgs_160_tpt_160_halfLds_sp_ip_CI_unitstride_sbrr_dirReg
		.amdhsa_group_segment_fixed_size 0
		.amdhsa_private_segment_fixed_size 0
		.amdhsa_kernarg_size 88
		.amdhsa_user_sgpr_count 15
		.amdhsa_user_sgpr_dispatch_ptr 0
		.amdhsa_user_sgpr_queue_ptr 0
		.amdhsa_user_sgpr_kernarg_segment_ptr 1
		.amdhsa_user_sgpr_dispatch_id 0
		.amdhsa_user_sgpr_private_segment_size 0
		.amdhsa_wavefront_size32 1
		.amdhsa_uses_dynamic_stack 0
		.amdhsa_enable_private_segment 0
		.amdhsa_system_sgpr_workgroup_id_x 1
		.amdhsa_system_sgpr_workgroup_id_y 0
		.amdhsa_system_sgpr_workgroup_id_z 0
		.amdhsa_system_sgpr_workgroup_info 0
		.amdhsa_system_vgpr_workitem_id 0
		.amdhsa_next_free_vgpr 91
		.amdhsa_next_free_sgpr 21
		.amdhsa_reserve_vcc 1
		.amdhsa_float_round_mode_32 0
		.amdhsa_float_round_mode_16_64 0
		.amdhsa_float_denorm_mode_32 3
		.amdhsa_float_denorm_mode_16_64 3
		.amdhsa_dx10_clamp 1
		.amdhsa_ieee_mode 1
		.amdhsa_fp16_overflow 0
		.amdhsa_workgroup_processor_mode 1
		.amdhsa_memory_ordered 1
		.amdhsa_forward_progress 0
		.amdhsa_shared_vgpr_count 0
		.amdhsa_exception_fp_ieee_invalid_op 0
		.amdhsa_exception_fp_denorm_src 0
		.amdhsa_exception_fp_ieee_div_zero 0
		.amdhsa_exception_fp_ieee_overflow 0
		.amdhsa_exception_fp_ieee_underflow 0
		.amdhsa_exception_fp_ieee_inexact 0
		.amdhsa_exception_int_div_zero 0
	.end_amdhsa_kernel
	.text
.Lfunc_end0:
	.size	fft_rtc_back_len3200_factors_10_10_4_4_2_wgs_160_tpt_160_halfLds_sp_ip_CI_unitstride_sbrr_dirReg, .Lfunc_end0-fft_rtc_back_len3200_factors_10_10_4_4_2_wgs_160_tpt_160_halfLds_sp_ip_CI_unitstride_sbrr_dirReg
                                        ; -- End function
	.section	.AMDGPU.csdata,"",@progbits
; Kernel info:
; codeLenInByte = 12296
; NumSgprs: 23
; NumVgprs: 91
; ScratchSize: 0
; MemoryBound: 0
; FloatMode: 240
; IeeeMode: 1
; LDSByteSize: 0 bytes/workgroup (compile time only)
; SGPRBlocks: 2
; VGPRBlocks: 11
; NumSGPRsForWavesPerEU: 23
; NumVGPRsForWavesPerEU: 91
; Occupancy: 15
; WaveLimiterHint : 1
; COMPUTE_PGM_RSRC2:SCRATCH_EN: 0
; COMPUTE_PGM_RSRC2:USER_SGPR: 15
; COMPUTE_PGM_RSRC2:TRAP_HANDLER: 0
; COMPUTE_PGM_RSRC2:TGID_X_EN: 1
; COMPUTE_PGM_RSRC2:TGID_Y_EN: 0
; COMPUTE_PGM_RSRC2:TGID_Z_EN: 0
; COMPUTE_PGM_RSRC2:TIDIG_COMP_CNT: 0
	.text
	.p2alignl 7, 3214868480
	.fill 96, 4, 3214868480
	.type	__hip_cuid_b77e12742b353a5c,@object ; @__hip_cuid_b77e12742b353a5c
	.section	.bss,"aw",@nobits
	.globl	__hip_cuid_b77e12742b353a5c
__hip_cuid_b77e12742b353a5c:
	.byte	0                               ; 0x0
	.size	__hip_cuid_b77e12742b353a5c, 1

	.ident	"AMD clang version 19.0.0git (https://github.com/RadeonOpenCompute/llvm-project roc-6.4.0 25133 c7fe45cf4b819c5991fe208aaa96edf142730f1d)"
	.section	".note.GNU-stack","",@progbits
	.addrsig
	.addrsig_sym __hip_cuid_b77e12742b353a5c
	.amdgpu_metadata
---
amdhsa.kernels:
  - .args:
      - .actual_access:  read_only
        .address_space:  global
        .offset:         0
        .size:           8
        .value_kind:     global_buffer
      - .offset:         8
        .size:           8
        .value_kind:     by_value
      - .actual_access:  read_only
        .address_space:  global
        .offset:         16
        .size:           8
        .value_kind:     global_buffer
      - .actual_access:  read_only
        .address_space:  global
        .offset:         24
        .size:           8
        .value_kind:     global_buffer
      - .offset:         32
        .size:           8
        .value_kind:     by_value
      - .actual_access:  read_only
        .address_space:  global
        .offset:         40
        .size:           8
        .value_kind:     global_buffer
      - .actual_access:  read_only
        .address_space:  global
        .offset:         48
        .size:           8
        .value_kind:     global_buffer
      - .offset:         56
        .size:           4
        .value_kind:     by_value
      - .actual_access:  read_only
        .address_space:  global
        .offset:         64
        .size:           8
        .value_kind:     global_buffer
      - .actual_access:  read_only
        .address_space:  global
        .offset:         72
        .size:           8
        .value_kind:     global_buffer
      - .address_space:  global
        .offset:         80
        .size:           8
        .value_kind:     global_buffer
    .group_segment_fixed_size: 0
    .kernarg_segment_align: 8
    .kernarg_segment_size: 88
    .language:       OpenCL C
    .language_version:
      - 2
      - 0
    .max_flat_workgroup_size: 160
    .name:           fft_rtc_back_len3200_factors_10_10_4_4_2_wgs_160_tpt_160_halfLds_sp_ip_CI_unitstride_sbrr_dirReg
    .private_segment_fixed_size: 0
    .sgpr_count:     23
    .sgpr_spill_count: 0
    .symbol:         fft_rtc_back_len3200_factors_10_10_4_4_2_wgs_160_tpt_160_halfLds_sp_ip_CI_unitstride_sbrr_dirReg.kd
    .uniform_work_group_size: 1
    .uses_dynamic_stack: false
    .vgpr_count:     91
    .vgpr_spill_count: 0
    .wavefront_size: 32
    .workgroup_processor_mode: 1
amdhsa.target:   amdgcn-amd-amdhsa--gfx1100
amdhsa.version:
  - 1
  - 2
...

	.end_amdgpu_metadata
